;; amdgpu-corpus repo=ROCm/rocFFT kind=compiled arch=gfx950 opt=O3
	.text
	.amdgcn_target "amdgcn-amd-amdhsa--gfx950"
	.amdhsa_code_object_version 6
	.protected	fft_rtc_back_len816_factors_17_2_3_2_2_2_wgs_51_tpt_51_halfLds_half_ip_CI_sbrr_dirReg ; -- Begin function fft_rtc_back_len816_factors_17_2_3_2_2_2_wgs_51_tpt_51_halfLds_half_ip_CI_sbrr_dirReg
	.globl	fft_rtc_back_len816_factors_17_2_3_2_2_2_wgs_51_tpt_51_halfLds_half_ip_CI_sbrr_dirReg
	.p2align	8
	.type	fft_rtc_back_len816_factors_17_2_3_2_2_2_wgs_51_tpt_51_halfLds_half_ip_CI_sbrr_dirReg,@function
fft_rtc_back_len816_factors_17_2_3_2_2_2_wgs_51_tpt_51_halfLds_half_ip_CI_sbrr_dirReg: ; @fft_rtc_back_len816_factors_17_2_3_2_2_2_wgs_51_tpt_51_halfLds_half_ip_CI_sbrr_dirReg
; %bb.0:
	s_load_dwordx2 s[12:13], s[0:1], 0x18
	s_load_dwordx4 s[4:7], s[0:1], 0x0
	s_load_dwordx2 s[10:11], s[0:1], 0x50
	v_mul_u32_u24_e32 v1, 0x506, v0
	v_add_u32_sdwa v6, s2, v1 dst_sel:DWORD dst_unused:UNUSED_PAD src0_sel:DWORD src1_sel:WORD_1
	s_waitcnt lgkmcnt(0)
	s_load_dwordx2 s[8:9], s[12:13], 0x0
	v_mov_b32_e32 v4, 0
	v_cmp_lt_u64_e64 s[2:3], s[6:7], 2
	v_mov_b32_e32 v7, v4
	s_and_b64 vcc, exec, s[2:3]
	v_mov_b64_e32 v[2:3], 0
	s_cbranch_vccnz .LBB0_8
; %bb.1:
	s_load_dwordx2 s[2:3], s[0:1], 0x10
	s_add_u32 s14, s12, 8
	s_addc_u32 s15, s13, 0
	s_mov_b64 s[16:17], 1
	v_mov_b64_e32 v[2:3], 0
	s_waitcnt lgkmcnt(0)
	s_add_u32 s18, s2, 8
	s_addc_u32 s19, s3, 0
.LBB0_2:                                ; =>This Inner Loop Header: Depth=1
	s_load_dwordx2 s[20:21], s[18:19], 0x0
                                        ; implicit-def: $vgpr8_vgpr9
	s_waitcnt lgkmcnt(0)
	v_or_b32_e32 v5, s21, v7
	v_cmp_ne_u64_e32 vcc, 0, v[4:5]
	s_and_saveexec_b64 s[2:3], vcc
	s_xor_b64 s[22:23], exec, s[2:3]
	s_cbranch_execz .LBB0_4
; %bb.3:                                ;   in Loop: Header=BB0_2 Depth=1
	v_cvt_f32_u32_e32 v1, s20
	v_cvt_f32_u32_e32 v5, s21
	s_sub_u32 s2, 0, s20
	s_subb_u32 s3, 0, s21
	v_fmac_f32_e32 v1, 0x4f800000, v5
	v_rcp_f32_e32 v1, v1
	s_nop 0
	v_mul_f32_e32 v1, 0x5f7ffffc, v1
	v_mul_f32_e32 v5, 0x2f800000, v1
	v_trunc_f32_e32 v5, v5
	v_fmac_f32_e32 v1, 0xcf800000, v5
	v_cvt_u32_f32_e32 v5, v5
	v_cvt_u32_f32_e32 v1, v1
	v_mul_lo_u32 v8, s2, v5
	v_mul_hi_u32 v10, s2, v1
	v_mul_lo_u32 v9, s3, v1
	v_add_u32_e32 v10, v10, v8
	v_mul_lo_u32 v12, s2, v1
	v_add_u32_e32 v13, v10, v9
	v_mul_hi_u32 v8, v1, v12
	v_mul_hi_u32 v11, v1, v13
	v_mul_lo_u32 v10, v1, v13
	v_mov_b32_e32 v9, v4
	v_lshl_add_u64 v[8:9], v[8:9], 0, v[10:11]
	v_mul_hi_u32 v11, v5, v12
	v_mul_lo_u32 v12, v5, v12
	v_add_co_u32_e32 v8, vcc, v8, v12
	v_mul_hi_u32 v10, v5, v13
	s_nop 0
	v_addc_co_u32_e32 v8, vcc, v9, v11, vcc
	v_mov_b32_e32 v9, v4
	s_nop 0
	v_addc_co_u32_e32 v11, vcc, 0, v10, vcc
	v_mul_lo_u32 v10, v5, v13
	v_lshl_add_u64 v[8:9], v[8:9], 0, v[10:11]
	v_add_co_u32_e32 v1, vcc, v1, v8
	v_mul_lo_u32 v10, s2, v1
	s_nop 0
	v_addc_co_u32_e32 v5, vcc, v5, v9, vcc
	v_mul_lo_u32 v8, s2, v5
	v_mul_hi_u32 v9, s2, v1
	v_add_u32_e32 v8, v9, v8
	v_mul_lo_u32 v9, s3, v1
	v_add_u32_e32 v12, v8, v9
	v_mul_hi_u32 v14, v5, v10
	v_mul_lo_u32 v15, v5, v10
	v_mul_hi_u32 v9, v1, v12
	v_mul_lo_u32 v8, v1, v12
	v_mul_hi_u32 v10, v1, v10
	v_mov_b32_e32 v11, v4
	v_lshl_add_u64 v[8:9], v[10:11], 0, v[8:9]
	v_add_co_u32_e32 v8, vcc, v8, v15
	v_mul_hi_u32 v13, v5, v12
	s_nop 0
	v_addc_co_u32_e32 v8, vcc, v9, v14, vcc
	v_mul_lo_u32 v10, v5, v12
	s_nop 0
	v_addc_co_u32_e32 v11, vcc, 0, v13, vcc
	v_mov_b32_e32 v9, v4
	v_lshl_add_u64 v[8:9], v[8:9], 0, v[10:11]
	v_add_co_u32_e32 v1, vcc, v1, v8
	v_mul_hi_u32 v10, v6, v1
	s_nop 0
	v_addc_co_u32_e32 v5, vcc, v5, v9, vcc
	v_mad_u64_u32 v[8:9], s[2:3], v6, v5, 0
	v_mov_b32_e32 v11, v4
	v_lshl_add_u64 v[8:9], v[10:11], 0, v[8:9]
	v_mad_u64_u32 v[12:13], s[2:3], v7, v1, 0
	v_add_co_u32_e32 v1, vcc, v8, v12
	v_mad_u64_u32 v[10:11], s[2:3], v7, v5, 0
	s_nop 0
	v_addc_co_u32_e32 v8, vcc, v9, v13, vcc
	v_mov_b32_e32 v9, v4
	s_nop 0
	v_addc_co_u32_e32 v11, vcc, 0, v11, vcc
	v_lshl_add_u64 v[8:9], v[8:9], 0, v[10:11]
	v_mul_lo_u32 v1, s21, v8
	v_mul_lo_u32 v5, s20, v9
	v_mad_u64_u32 v[10:11], s[2:3], s20, v8, 0
	v_add3_u32 v1, v11, v5, v1
	v_sub_u32_e32 v5, v7, v1
	v_mov_b32_e32 v11, s21
	v_sub_co_u32_e32 v14, vcc, v6, v10
	v_lshl_add_u64 v[12:13], v[8:9], 0, 1
	s_nop 0
	v_subb_co_u32_e64 v5, s[2:3], v5, v11, vcc
	v_subrev_co_u32_e64 v10, s[2:3], s20, v14
	v_subb_co_u32_e32 v1, vcc, v7, v1, vcc
	s_nop 0
	v_subbrev_co_u32_e64 v5, s[2:3], 0, v5, s[2:3]
	v_cmp_le_u32_e64 s[2:3], s21, v5
	v_cmp_le_u32_e32 vcc, s21, v1
	s_nop 0
	v_cndmask_b32_e64 v11, 0, -1, s[2:3]
	v_cmp_le_u32_e64 s[2:3], s20, v10
	s_nop 1
	v_cndmask_b32_e64 v10, 0, -1, s[2:3]
	v_cmp_eq_u32_e64 s[2:3], s21, v5
	s_nop 1
	v_cndmask_b32_e64 v5, v11, v10, s[2:3]
	v_lshl_add_u64 v[10:11], v[8:9], 0, 2
	v_cmp_ne_u32_e64 s[2:3], 0, v5
	s_nop 1
	v_cndmask_b32_e64 v5, v13, v11, s[2:3]
	v_cndmask_b32_e64 v11, 0, -1, vcc
	v_cmp_le_u32_e32 vcc, s20, v14
	s_nop 1
	v_cndmask_b32_e64 v13, 0, -1, vcc
	v_cmp_eq_u32_e32 vcc, s21, v1
	s_nop 1
	v_cndmask_b32_e32 v1, v11, v13, vcc
	v_cmp_ne_u32_e32 vcc, 0, v1
	v_cndmask_b32_e64 v1, v12, v10, s[2:3]
	s_nop 0
	v_cndmask_b32_e32 v9, v9, v5, vcc
	v_cndmask_b32_e32 v8, v8, v1, vcc
.LBB0_4:                                ;   in Loop: Header=BB0_2 Depth=1
	s_andn2_saveexec_b64 s[2:3], s[22:23]
	s_cbranch_execz .LBB0_6
; %bb.5:                                ;   in Loop: Header=BB0_2 Depth=1
	v_cvt_f32_u32_e32 v1, s20
	s_sub_i32 s22, 0, s20
	v_rcp_iflag_f32_e32 v1, v1
	s_nop 0
	v_mul_f32_e32 v1, 0x4f7ffffe, v1
	v_cvt_u32_f32_e32 v1, v1
	v_mul_lo_u32 v5, s22, v1
	v_mul_hi_u32 v5, v1, v5
	v_add_u32_e32 v1, v1, v5
	v_mul_hi_u32 v1, v6, v1
	v_mul_lo_u32 v5, v1, s20
	v_sub_u32_e32 v5, v6, v5
	v_add_u32_e32 v8, 1, v1
	v_subrev_u32_e32 v9, s20, v5
	v_cmp_le_u32_e32 vcc, s20, v5
	s_nop 1
	v_cndmask_b32_e32 v5, v5, v9, vcc
	v_cndmask_b32_e32 v1, v1, v8, vcc
	v_add_u32_e32 v8, 1, v1
	v_cmp_le_u32_e32 vcc, s20, v5
	v_mov_b32_e32 v9, v4
	s_nop 0
	v_cndmask_b32_e32 v8, v1, v8, vcc
.LBB0_6:                                ;   in Loop: Header=BB0_2 Depth=1
	s_or_b64 exec, exec, s[2:3]
	v_mad_u64_u32 v[10:11], s[2:3], v8, s20, 0
	s_load_dwordx2 s[2:3], s[14:15], 0x0
	v_mul_lo_u32 v1, v9, s20
	v_mul_lo_u32 v5, v8, s21
	v_add3_u32 v1, v11, v5, v1
	v_sub_co_u32_e32 v5, vcc, v6, v10
	s_add_u32 s16, s16, 1
	s_nop 0
	v_subb_co_u32_e32 v1, vcc, v7, v1, vcc
	s_addc_u32 s17, s17, 0
	s_waitcnt lgkmcnt(0)
	v_mul_lo_u32 v1, s2, v1
	v_mul_lo_u32 v6, s3, v5
	v_mad_u64_u32 v[2:3], s[2:3], s2, v5, v[2:3]
	s_add_u32 s14, s14, 8
	v_add3_u32 v3, v6, v3, v1
	s_addc_u32 s15, s15, 0
	v_mov_b64_e32 v[6:7], s[6:7]
	s_add_u32 s18, s18, 8
	v_cmp_ge_u64_e32 vcc, s[16:17], v[6:7]
	s_addc_u32 s19, s19, 0
	s_cbranch_vccnz .LBB0_9
; %bb.7:                                ;   in Loop: Header=BB0_2 Depth=1
	v_mov_b64_e32 v[6:7], v[8:9]
	s_branch .LBB0_2
.LBB0_8:
	v_mov_b64_e32 v[8:9], v[6:7]
.LBB0_9:
	s_lshl_b64 s[2:3], s[6:7], 3
	s_add_u32 s2, s12, s2
	s_addc_u32 s3, s13, s3
	s_load_dwordx2 s[6:7], s[2:3], 0x0
	s_load_dwordx2 s[12:13], s[0:1], 0x20
	v_mov_b32_e32 v5, 0
	v_mov_b32_e32 v12, 0
                                        ; implicit-def: $vgpr13
                                        ; implicit-def: $vgpr14
                                        ; implicit-def: $vgpr15
                                        ; implicit-def: $vgpr16
                                        ; implicit-def: $vgpr17
                                        ; implicit-def: $vgpr18
                                        ; implicit-def: $vgpr10
                                        ; implicit-def: $vgpr19
                                        ; implicit-def: $vgpr11
                                        ; implicit-def: $vgpr20
                                        ; implicit-def: $vgpr29
                                        ; implicit-def: $vgpr21
                                        ; implicit-def: $vgpr30
                                        ; implicit-def: $vgpr22
                                        ; implicit-def: $vgpr31
                                        ; implicit-def: $vgpr23
                                        ; implicit-def: $vgpr32
                                        ; implicit-def: $vgpr24
                                        ; implicit-def: $vgpr33
                                        ; implicit-def: $vgpr25
                                        ; implicit-def: $vgpr34
                                        ; implicit-def: $vgpr26
                                        ; implicit-def: $vgpr35
                                        ; implicit-def: $vgpr27
                                        ; implicit-def: $vgpr36
                                        ; implicit-def: $vgpr28
                                        ; implicit-def: $vgpr37
	s_waitcnt lgkmcnt(0)
	v_mad_u64_u32 v[6:7], s[0:1], s6, v8, v[2:3]
	v_mul_lo_u32 v1, s6, v9
	v_mul_lo_u32 v4, s7, v8
	s_mov_b32 s0, 0x5050506
	v_add3_u32 v7, v4, v7, v1
	v_mul_hi_u32 v1, v0, s0
	v_mul_u32_u24_e32 v1, 51, v1
	v_sub_u32_e32 v2, v0, v1
	v_cmp_gt_u64_e32 vcc, s[12:13], v[8:9]
	v_cmp_gt_u32_e64 s[0:1], 48, v2
	s_and_b64 s[6:7], vcc, s[0:1]
	v_lshl_add_u64 v[0:1], v[6:7], 2, s[10:11]
                                        ; implicit-def: $vgpr4
                                        ; implicit-def: $vgpr6
                                        ; implicit-def: $vgpr7
                                        ; implicit-def: $vgpr8
                                        ; implicit-def: $vgpr9
	s_and_saveexec_b64 s[2:3], s[6:7]
	s_cbranch_execz .LBB0_11
; %bb.10:
	v_mad_u64_u32 v[4:5], s[6:7], s8, v2, 0
	v_mov_b32_e32 v6, v5
	v_mad_u64_u32 v[6:7], s[6:7], s9, v2, v[6:7]
	v_mov_b32_e32 v5, v6
	v_add_u32_e32 v3, 48, v2
	v_lshl_add_u64 v[14:15], v[4:5], 2, v[0:1]
	v_mad_u64_u32 v[4:5], s[6:7], s8, v3, 0
	v_mov_b32_e32 v6, v5
	v_mad_u64_u32 v[6:7], s[6:7], s9, v3, v[6:7]
	v_mov_b32_e32 v5, v6
	v_add_u32_e32 v3, 0x60, v2
	v_lshl_add_u64 v[16:17], v[4:5], 2, v[0:1]
	v_mad_u64_u32 v[4:5], s[6:7], s8, v3, 0
	v_mov_b32_e32 v6, v5
	v_mad_u64_u32 v[6:7], s[6:7], s9, v3, v[6:7]
	v_mov_b32_e32 v5, v6
	v_add_u32_e32 v3, 0x90, v2
	v_lshl_add_u64 v[18:19], v[4:5], 2, v[0:1]
	v_mad_u64_u32 v[4:5], s[6:7], s8, v3, 0
	v_mov_b32_e32 v6, v5
	v_mad_u64_u32 v[6:7], s[6:7], s9, v3, v[6:7]
	v_mov_b32_e32 v5, v6
	v_or_b32_e32 v3, 0xc0, v2
	v_lshl_add_u64 v[20:21], v[4:5], 2, v[0:1]
	v_mad_u64_u32 v[4:5], s[6:7], s8, v3, 0
	v_mov_b32_e32 v6, v5
	v_mad_u64_u32 v[6:7], s[6:7], s9, v3, v[6:7]
	v_mov_b32_e32 v5, v6
	v_add_u32_e32 v3, 0xf0, v2
	v_lshl_add_u64 v[22:23], v[4:5], 2, v[0:1]
	v_mad_u64_u32 v[4:5], s[6:7], s8, v3, 0
	v_mov_b32_e32 v6, v5
	v_mad_u64_u32 v[6:7], s[6:7], s9, v3, v[6:7]
	v_mov_b32_e32 v5, v6
	v_add_u32_e32 v3, 0x120, v2
	;; [unrolled: 6-line block ×3, first 2 shown]
	v_lshl_add_u64 v[26:27], v[4:5], 2, v[0:1]
	v_mad_u64_u32 v[4:5], s[6:7], s8, v3, 0
	v_mov_b32_e32 v6, v5
	v_mad_u64_u32 v[6:7], s[6:7], s9, v3, v[6:7]
	v_mov_b32_e32 v5, v6
	v_or_b32_e32 v3, 0x180, v2
	v_lshl_add_u64 v[28:29], v[4:5], 2, v[0:1]
	global_load_dword v12, v[14:15], off
	global_load_dword v4, v[16:17], off
	;; [unrolled: 1-line block ×8, first 2 shown]
	v_mad_u64_u32 v[14:15], s[6:7], s8, v3, 0
	v_mov_b32_e32 v16, v15
	v_mad_u64_u32 v[16:17], s[6:7], s9, v3, v[16:17]
	v_add_u32_e32 v3, 0x1b0, v2
	v_mov_b32_e32 v15, v16
	v_mad_u64_u32 v[16:17], s[6:7], s8, v3, 0
	v_mov_b32_e32 v18, v17
	v_mad_u64_u32 v[18:19], s[6:7], s9, v3, v[18:19]
	v_add_u32_e32 v3, 0x1e0, v2
	v_mov_b32_e32 v17, v18
	;; [unrolled: 5-line block ×3, first 2 shown]
	v_mad_u64_u32 v[20:21], s[6:7], s8, v3, 0
	v_mov_b32_e32 v22, v21
	v_mad_u64_u32 v[22:23], s[6:7], s9, v3, v[22:23]
	v_or_b32_e32 v3, 0x240, v2
	v_mov_b32_e32 v21, v22
	v_mad_u64_u32 v[22:23], s[6:7], s8, v3, 0
	v_mov_b32_e32 v24, v23
	v_mad_u64_u32 v[24:25], s[6:7], s9, v3, v[24:25]
	v_add_u32_e32 v3, 0x270, v2
	v_mov_b32_e32 v23, v24
	v_mad_u64_u32 v[24:25], s[6:7], s8, v3, 0
	v_mov_b32_e32 v26, v25
	v_mad_u64_u32 v[26:27], s[6:7], s9, v3, v[26:27]
	v_add_u32_e32 v3, 0x2a0, v2
	;; [unrolled: 5-line block ×3, first 2 shown]
	v_mov_b32_e32 v27, v28
	v_mad_u64_u32 v[28:29], s[6:7], s8, v3, 0
	v_mov_b32_e32 v30, v29
	v_mad_u64_u32 v[30:31], s[6:7], s9, v3, v[30:31]
	v_lshl_add_u64 v[14:15], v[14:15], 2, v[0:1]
	v_mov_b32_e32 v29, v30
	v_or_b32_e32 v3, 0x300, v2
	v_lshl_add_u64 v[16:17], v[16:17], 2, v[0:1]
	v_lshl_add_u64 v[18:19], v[18:19], 2, v[0:1]
	;; [unrolled: 1-line block ×7, first 2 shown]
	global_load_dword v29, v[14:15], off
	global_load_dword v30, v[16:17], off
	;; [unrolled: 1-line block ×8, first 2 shown]
	v_mad_u64_u32 v[14:15], s[6:7], s8, v3, 0
	v_mov_b32_e32 v16, v15
	v_mad_u64_u32 v[16:17], s[6:7], s9, v3, v[16:17]
	v_mov_b32_e32 v15, v16
	v_lshl_add_u64 v[14:15], v[14:15], 2, v[0:1]
	global_load_dword v37, v[14:15], off
	s_waitcnt vmcnt(16)
	v_lshrrev_b32_e32 v5, 16, v12
	s_waitcnt vmcnt(15)
	v_lshrrev_b32_e32 v13, 16, v4
	;; [unrolled: 2-line block ×17, first 2 shown]
.LBB0_11:
	s_or_b64 exec, exec, s[2:3]
	v_sub_f16_e32 v46, v13, v28
	v_add_f16_e32 v38, v4, v37
	s_movk_i32 s2, 0x3b76
	v_mul_f16_e32 v54, 0xb5c8, v46
	v_sub_f16_e32 v47, v14, v27
	v_fma_f16 v3, v38, s2, -v54
	v_add_f16_e32 v39, v6, v36
	s_movk_i32 s2, 0x39e9
	v_mul_f16_e32 v55, 0xb964, v47
	v_add_f16_e32 v3, v12, v3
	v_fma_f16 v40, v39, s2, -v55
	v_sub_f16_e32 v48, v15, v26
	v_add_f16_e32 v3, v40, v3
	v_add_f16_e32 v40, v7, v35
	s_movk_i32 s2, 0x3722
	v_mul_f16_e32 v56, 0xbb29, v48
	v_fma_f16 v41, v40, s2, -v56
	v_sub_f16_e32 v49, v16, v25
	v_add_f16_e32 v3, v41, v3
	v_add_f16_e32 v41, v8, v34
	s_movk_i32 s2, 0x2de8
	v_mul_f16_e32 v57, 0xbbf7, v49
	v_fma_f16 v42, v41, s2, -v57
	v_sub_f16_e32 v50, v17, v24
	v_add_f16_e32 v3, v42, v3
	v_add_f16_e32 v42, v9, v33
	s_mov_b32 s2, 0xb461
	v_mul_f16_e32 v58, 0xbbb2, v50
	v_fma_f16 v43, v42, s2, -v58
	v_sub_f16_e32 v51, v18, v23
	v_add_f16_e32 v3, v43, v3
	v_add_f16_e32 v43, v10, v32
	s_mov_b32 s2, 0xb8d2
	;; [unrolled: 6-line block ×4, first 2 shown]
	v_mul_f16_e32 v61, 0xb1e1, v53
	v_fma_f16 v62, v45, s2, -v61
	s_mov_b32 s6, 0xbbb2
	s_mov_b32 s7, 0xba62
	;; [unrolled: 1-line block ×4, first 2 shown]
	v_add_f16_e32 v3, v62, v3
	s_and_saveexec_b64 s[2:3], s[0:1]
	s_cbranch_execz .LBB0_13
; %bb.12:
	s_mov_b32 s20, 0xbb29b964
	s_mov_b32 s19, 0x372239e9
	v_pk_mul_f16 v72, v46, s20 op_sel_hi:[0,1]
	s_mov_b32 s21, 0xba62bbf7
	s_mov_b32 s20, 0xb8d22de8
	v_pk_mul_f16 v73, v47, s21 op_sel_hi:[0,1]
	s_mov_b32 s22, 0x31e1ba62
	v_pk_fma_f16 v62, v38, s19, v72 op_sel_hi:[0,1,1]
	s_mov_b32 s21, 0xbbddb8d2
	v_pk_mul_f16 v74, v48, s22 op_sel_hi:[0,1]
	s_mov_b32 s23, 0x3bb2b1e1
	v_pk_add_f16 v62, v12, v62 op_sel_hi:[0,1]
	v_pk_fma_f16 v63, v39, s20, v73 op_sel_hi:[0,1,1]
	s_mov_b32 s22, 0xb461bbdd
	v_pk_mul_f16 v75, v49, s23 op_sel_hi:[0,1]
	s_mov_b32 s24, 0x39643836
	v_pk_add_f16 v62, v63, v62
	v_pk_fma_f16 v63, v40, s21, v74 op_sel_hi:[0,1,1]
	s_mov_b32 s23, 0x39e9bacd
	v_pk_mul_f16 v76, v50, s24 op_sel_hi:[0,1]
	s_mov_b32 s25, 0xb5c83bb2
	v_pk_add_f16 v62, v63, v62
	;; [unrolled: 5-line block ×3, first 2 shown]
	v_pk_fma_f16 v63, v42, s23, v76 op_sel_hi:[0,1,1]
	s_mov_b32 s13, 0xbbb2bbf7
	s_mov_b32 s25, 0x2de83722
	v_pk_mul_f16 v78, v52, s27 op_sel_hi:[0,1]
	v_pk_add_f16 v62, v63, v62
	v_pk_fma_f16 v63, v43, s24, v77 op_sel_hi:[0,1,1]
	s_mov_b32 s12, 0xb4612de8
	v_pk_mul_f16 v66, v46, s13 op_sel_hi:[0,1]
	s_mov_b32 s14, 0x3836b1e1
	v_pk_add_f16 v62, v63, v62
	v_pk_fma_f16 v63, v44, s25, v78 op_sel_hi:[0,1,1]
	s_mov_b32 s13, 0xbacdbbdd
	v_pk_mul_f16 v67, v47, s14 op_sel_hi:[0,1]
	s_mov_b32 s15, 0x39643bb2
	;; [unrolled: 5-line block ×3, first 2 shown]
	v_pk_add_f16 v63, v12, v63 op_sel_hi:[0,1]
	v_pk_fma_f16 v64, v39, s13, v67 op_sel_hi:[0,1,1]
	s_mov_b32 s15, 0x37223b76
	v_pk_mul_f16 v69, v49, s16 op_sel_hi:[0,1]
	s_mov_b32 s17, 0xb1e1bb29
	v_pk_add_f16 v63, v64, v63
	v_pk_fma_f16 v64, v40, s14, v68 op_sel_hi:[0,1,1]
	s_mov_b32 s16, 0xbbdd3722
	v_pk_mul_f16 v70, v50, s17 op_sel_hi:[0,1]
	s_mov_b32 s18, 0x3bf7b836
	v_pk_add_f16 v63, v64, v63
	;; [unrolled: 5-line block ×3, first 2 shown]
	v_pk_fma_f16 v64, v42, s16, v70 op_sel_hi:[0,1,1]
	s_mov_b32 s18, 0x3b76b8d2
	v_pk_add_f16 v63, v64, v63
	v_pk_fma_f16 v64, v43, s17, v71 op_sel_hi:[0,1,1]
	v_pk_mul_f16 v79, v52, s26 op_sel_hi:[0,1]
	s_mov_b32 s28, 0xba623964
	s_mov_b32 s29, 0xb83635c8
	v_pk_add_f16 v63, v64, v63
	v_pk_fma_f16 v64, v44, s18, v79 op_sel_hi:[0,1,1]
	s_mov_b32 s26, 0xbacd3b76
	v_pk_mul_f16 v80, v53, s28 op_sel_hi:[0,1]
	v_pk_mul_f16 v81, v53, s29 op_sel_hi:[0,1]
	s_mov_b32 s28, 0xbacdb8d2
	v_pk_add_f16 v64, v64, v63
	s_mov_b32 s27, 0xb8d239e9
	v_pk_fma_f16 v63, v45, s26, v81 op_sel_hi:[0,1,1]
	s_mov_b32 s29, 0xb836ba62
	s_mov_b32 s30, 0x3722b461
	v_pk_mul_f16 v82, v38, s28 op_sel_hi:[0,1]
	v_pk_fma_f16 v65, v45, s27, v80 op_sel_hi:[0,1,1]
	v_pk_add_f16 v63, v63, v62
	s_mov_b32 s31, 0x3b293bb2
	v_pk_fma_f16 v62, v46, s29, v82 op_sel_hi:[0,1,1]
	v_pk_mul_f16 v83, v39, s30 op_sel_hi:[0,1]
	s_mov_b32 s28, 0x2de83b76
	v_pk_add_f16 v64, v65, v64
	v_pk_add_f16 v62, v12, v62 op_sel_hi:[0,1]
	v_pk_fma_f16 v65, v47, s31, v83 op_sel_hi:[0,1,1]
	s_mov_b32 s30, 0xbbf7b5c8
	v_pk_mul_f16 v84, v40, s28 op_sel_hi:[0,1]
	s_mov_b32 s28, 0xb8d2bacd
	v_pk_add_f16 v62, v65, v62
	v_pk_fma_f16 v65, v48, s30, v84 op_sel_hi:[0,1,1]
	s_mov_b32 s33, 0x3a62b836
	v_pk_mul_f16 v85, v41, s28 op_sel_hi:[0,1]
	s_mov_b32 s28, 0x3b762de8
	v_pk_add_f16 v62, v65, v62
	;; [unrolled: 5-line block ×5, first 2 shown]
	v_pk_fma_f16 v65, v52, s36, v88 op_sel_hi:[0,1,1]
	s_mov_b32 s37, 0xbbb23b29
	v_pk_mul_f16 v89, v45, s28 op_sel_hi:[0,1]
	v_pk_add_f16 v62, v65, v62
	v_pk_fma_f16 v65, v53, s37, v89 op_sel_hi:[0,1,1]
	v_pk_add_f16 v65, v65, v62
	v_mul_f16_e32 v62, 0x3b76, v38
	v_add_f16_e32 v54, v54, v62
	v_mul_f16_e32 v62, 0x39e9, v39
	v_add_f16_e32 v55, v55, v62
	v_add_f16_e32 v54, v12, v54
	;; [unrolled: 1-line block ×3, first 2 shown]
	v_mul_f16_e32 v55, 0x3722, v40
	v_add_f16_e32 v55, v56, v55
	v_add_f16_e32 v54, v55, v54
	v_mul_f16_e32 v55, 0x2de8, v41
	v_add_f16_e32 v55, v57, v55
	v_add_f16_e32 v54, v55, v54
	;; [unrolled: 3-line block ×6, first 2 shown]
	v_add_f16_e32 v55, v12, v4
	v_add_f16_e32 v55, v55, v6
	;; [unrolled: 1-line block ×16, first 2 shown]
	v_pack_b32_f16 v62, v55, v54
	v_mul_f16_e32 v55, 0xbbdd, v38
	s_movk_i32 s28, 0x35c8
	v_fma_f16 v56, v46, s11, v55
	v_mul_f16_e32 v57, 0x3b76, v39
	v_add_f16_e32 v56, v12, v56
	v_fma_f16 v58, v47, s28, v57
	v_add_f16_e32 v56, v58, v56
	v_mul_f16_e32 v58, 0xbacd, v40
	v_fma_f16 v59, v48, s10, v58
	v_add_f16_e32 v56, v59, v56
	s_movk_i32 s10, 0x3964
	v_mul_f16_e32 v59, 0x39e9, v41
	v_fma_f16 v60, v49, s10, v59
	v_add_f16_e32 v56, v60, v56
	v_mul_f16_e32 v60, 0xb8d2, v42
	v_fma_f16 v61, v50, s7, v60
	v_mad_u32_u24 v54, v2, 34, 0
	v_add_f16_e32 v56, v61, v56
	s_movk_i32 s7, 0x3b29
	v_mul_f16_e32 v61, 0x3722, v43
	ds_write_b128 v54, v[62:65]
	v_fma_f16 v62, v51, s7, v61
	v_add_f16_e32 v56, v62, v56
	v_mul_f16_e32 v62, 0xb461, v44
	v_fma_f16 v63, v52, s6, v62
	v_add_f16_e32 v56, v63, v56
	s_movk_i32 s6, 0x3bf7
	v_mul_f16_e32 v63, 0x2de8, v45
	v_fma_f16 v64, v53, s6, v63
	v_add_f16_e32 v56, v64, v56
	v_pk_mul_f16 v64, v46, s29 op_sel_hi:[0,1]
	s_mov_b32 s6, 0xffff
	v_mul_f16_e32 v46, 0xb1e1, v46
	v_sub_f16_e32 v65, v82, v64
	v_pk_mul_f16 v90, v47, s31 op_sel_hi:[0,1]
	v_bfi_b32 v55, s6, v55, v82
	v_bfi_b32 v46, s6, v46, v64
	v_mul_f16_e32 v47, 0x35c8, v47
	v_add_f16_e32 v65, v12, v65
	v_sub_f16_e32 v91, v83, v90
	v_pk_add_f16 v46, v55, v46 neg_lo:[0,1] neg_hi:[0,1]
	v_bfi_b32 v55, s6, v57, v83
	v_bfi_b32 v47, s6, v47, v90
	v_add_f16_e32 v65, v91, v65
	v_pk_mul_f16 v91, v48, s30 op_sel_hi:[0,1]
	v_pk_add_f16 v47, v55, v47 neg_lo:[0,1] neg_hi:[0,1]
	v_pk_add_f16 v46, v12, v46 op_sel_hi:[0,1]
	v_mul_f16_e32 v48, 0xb836, v48
	v_sub_f16_e32 v92, v84, v91
	v_pk_add_f16 v46, v47, v46
	v_bfi_b32 v47, s6, v58, v84
	v_bfi_b32 v48, s6, v48, v91
	v_add_f16_e32 v65, v92, v65
	v_pk_mul_f16 v92, v49, s33 op_sel_hi:[0,1]
	v_pk_add_f16 v47, v47, v48 neg_lo:[0,1] neg_hi:[0,1]
	v_mul_f16_e32 v48, 0x3964, v49
	v_sub_f16_e32 v93, v85, v92
	v_pk_add_f16 v46, v47, v46
	v_bfi_b32 v47, s6, v59, v85
	v_bfi_b32 v48, s6, v48, v92
	v_add_f16_e32 v65, v93, v65
	v_pk_mul_f16 v93, v50, s34 op_sel_hi:[0,1]
	v_pk_add_f16 v47, v47, v48 neg_lo:[0,1] neg_hi:[0,1]
	v_mul_f16_e32 v48, 0xba62, v50
	v_pk_add_f16 v46, v47, v46
	v_bfi_b32 v47, s6, v60, v86
	v_bfi_b32 v48, s6, v48, v93
	v_sub_f16_e32 v94, v86, v93
	v_pk_add_f16 v47, v47, v48 neg_lo:[0,1] neg_hi:[0,1]
	v_add_f16_e32 v65, v94, v65
	v_pk_mul_f16 v94, v51, s35 op_sel_hi:[0,1]
	v_pk_add_f16 v46, v47, v46
	v_mul_f16_e32 v47, 0x3b29, v51
	v_sub_f16_e32 v95, v87, v94
	v_bfi_b32 v50, s6, v61, v87
	v_bfi_b32 v47, s6, v47, v94
	v_add_f16_e32 v65, v95, v65
	v_pk_mul_f16 v95, v52, s36 op_sel_hi:[0,1]
	v_mul_f16_e32 v48, 0xbbb2, v52
	v_pk_add_f16 v47, v50, v47 neg_lo:[0,1] neg_hi:[0,1]
	v_sub_f16_e32 v96, v88, v95
	v_pk_add_f16 v46, v47, v46
	v_bfi_b32 v47, s6, v62, v88
	v_bfi_b32 v48, s6, v48, v95
	v_add_f16_e32 v65, v96, v65
	v_pk_mul_f16 v96, v53, s37 op_sel_hi:[0,1]
	v_mul_f16_e32 v49, 0x3bf7, v53
	v_pk_add_f16 v47, v47, v48 neg_lo:[0,1] neg_hi:[0,1]
	v_bfi_b32 v48, s6, v49, v96
	v_pk_add_f16 v46, v47, v46
	v_bfi_b32 v47, s6, v63, v89
	v_pk_add_f16 v47, v47, v48 neg_lo:[0,1] neg_hi:[0,1]
	v_pk_fma_f16 v48, v39, s13, v67 op_sel_hi:[0,1,1] neg_lo:[0,0,1] neg_hi:[0,0,1]
	v_pk_add_f16 v46, v47, v46
	v_pk_fma_f16 v47, v38, s12, v66 op_sel_hi:[0,1,1] neg_lo:[0,0,1] neg_hi:[0,0,1]
	v_pk_fma_f16 v38, v38, s19, v72 op_sel_hi:[0,1,1] neg_lo:[0,0,1] neg_hi:[0,0,1]
	v_pk_add_f16 v47, v12, v47 op_sel_hi:[0,1]
	v_pk_add_f16 v12, v12, v38 op_sel_hi:[0,1]
	v_pk_fma_f16 v38, v39, s20, v73 op_sel_hi:[0,1,1] neg_lo:[0,0,1] neg_hi:[0,0,1]
	v_pk_add_f16 v47, v48, v47
	v_pk_fma_f16 v48, v40, s14, v68 op_sel_hi:[0,1,1] neg_lo:[0,0,1] neg_hi:[0,0,1]
	v_pk_add_f16 v12, v38, v12
	;; [unrolled: 2-line block ×10, first 2 shown]
	v_pk_fma_f16 v38, v44, s25, v78 op_sel_hi:[0,1,1] neg_lo:[0,0,1] neg_hi:[0,0,1]
	v_sub_f16_e32 v97, v89, v96
	v_pk_add_f16 v47, v48, v47
	v_pk_fma_f16 v48, v45, s27, v80 op_sel_hi:[0,1,1] neg_lo:[0,0,1] neg_hi:[0,0,1]
	v_pk_add_f16 v12, v38, v12
	v_pk_fma_f16 v38, v45, s26, v81 op_sel_hi:[0,1,1] neg_lo:[0,0,1] neg_hi:[0,0,1]
	v_add_f16_e32 v65, v97, v65
	v_pk_add_f16 v47, v48, v47
	v_pk_add_f16 v12, v38, v12
	v_alignbit_b32 v39, v65, v46, 16
	v_pack_b32_f16 v38, v56, v46
	v_alignbit_b32 v41, v12, v12, 16
	v_alignbit_b32 v40, v47, v47, 16
	ds_write_b128 v54, v[38:41] offset:16
	ds_write_b16 v54, v3 offset:32
.LBB0_13:
	s_or_b64 exec, exec, s[2:3]
	v_add_f16_e32 v73, v13, v28
	s_mov_b32 s2, 0x39e93b76
	v_sub_f16_e32 v74, v4, v37
	v_pk_mul_f16 v47, v73, s2 op_sel_hi:[0,1]
	s_mov_b32 s2, 0xb964b5c8
	v_add_f16_e32 v71, v14, v27
	v_pk_mul_f16 v48, v74, s2 op_sel_hi:[0,1]
	s_mov_b32 s2, 0x2de839e9
	v_sub_f16_e32 v72, v6, v36
	v_pk_mul_f16 v50, v71, s2 op_sel_hi:[0,1]
	s_mov_b32 s2, 0xbbf7b964
	v_add_f16_e32 v65, v15, v26
	v_pk_mul_f16 v52, v72, s2 op_sel_hi:[0,1]
	s_mov_b32 s2, 0xb8d23722
	v_sub_f16_e32 v67, v7, v35
	v_pk_mul_f16 v53, v65, s2 op_sel_hi:[0,1]
	s_mov_b32 s2, 0xba62bb29
	v_add_f16_e32 v60, v16, v25
	v_pk_mul_f16 v55, v67, s2 op_sel_hi:[0,1]
	s_mov_b32 s2, 0xbbdd2de8
	v_sub_f16_e32 v62, v8, v34
	v_pk_mul_f16 v57, v60, s2 op_sel_hi:[0,1]
	s_mov_b32 s2, 0xb1e1bbf7
	v_add_f16_e32 v54, v17, v24
	v_pk_mul_f16 v58, v62, s2 op_sel_hi:[0,1]
	s_mov_b32 s2, 0xbacdb461
	v_sub_f16_e32 v56, v9, v33
	v_add_f16_e32 v4, v47, v48
	v_pk_mul_f16 v59, v54, s2 op_sel_hi:[0,1]
	s_mov_b32 s2, 0x3836bbb2
	v_add_f16_e32 v49, v18, v23
	v_add_f16_e32 v4, v5, v4
	;; [unrolled: 1-line block ×3, first 2 shown]
	v_pk_mul_f16 v61, v56, s2 op_sel_hi:[0,1]
	s_mov_b32 s2, 0xb461b8d2
	v_sub_f16_e32 v51, v10, v32
	v_add_f16_e32 v4, v6, v4
	v_add_f16_e32 v6, v53, v55
	v_pk_mul_f16 v63, v49, s2 op_sel_hi:[0,1]
	s_mov_b32 s2, 0x3bb2ba62
	v_add_f16_e32 v45, v19, v22
	v_add_f16_e32 v4, v6, v4
	;; [unrolled: 1-line block ×3, first 2 shown]
	v_pk_mul_f16 v64, v51, s2 op_sel_hi:[0,1]
	s_mov_b32 s2, 0x3722bacd
	v_lshl_add_u32 v10, v2, 1, 0
	v_sub_f16_e32 v46, v11, v31
	v_add_f16_e32 v4, v6, v4
	v_add_f16_e32 v6, v59, v61
	v_pk_mul_f16 v66, v45, s2 op_sel_hi:[0,1]
	s_mov_b32 s2, 0x3b29b836
	s_waitcnt lgkmcnt(0)
	; wave barrier
	s_waitcnt lgkmcnt(0)
	ds_read_u16 v8, v10 offset:918
	ds_read_u16 v40, v10
	ds_read_u16 v38, v10 offset:102
	ds_read_u16 v35, v10 offset:204
	;; [unrolled: 1-line block ×6, first 2 shown]
	v_add_f16_e32 v4, v6, v4
	v_add_f16_e32 v6, v63, v64
	v_pk_mul_f16 v68, v46, s2 op_sel_hi:[0,1]
	v_add_f16_e32 v4, v6, v4
	v_add_f16_e32 v6, v66, v68
	v_sub_f16_e32 v44, v29, v30
	v_add_f16_e32 v7, v6, v4
	v_add_u32_e32 v6, 0x165, v2
	ds_read_u16 v34, v10 offset:1020
	ds_read_u16 v32, v10 offset:1122
	;; [unrolled: 1-line block ×5, first 2 shown]
	v_add_u32_e32 v4, 0x132, v2
	v_lshl_add_u32 v12, v6, 1, 0
	v_lshl_add_u32 v11, v4, 1, 0
	ds_read_u16 v41, v12
	ds_read_u16 v42, v11
	ds_read_u16 v33, v10 offset:1530
	v_add_f16_e32 v43, v20, v21
	s_mov_b32 s2, 0x3b76bbdd
	v_pk_mul_f16 v69, v43, s2 op_sel_hi:[0,1]
	s_mov_b32 s2, 0x35c8b1e1
	v_pk_mul_f16 v70, v44, s2 op_sel_hi:[0,1]
	v_add_f16_e32 v75, v69, v70
	v_add_f16_e32 v7, v75, v7
	s_waitcnt lgkmcnt(0)
	; wave barrier
	s_waitcnt lgkmcnt(0)
	s_and_saveexec_b64 s[2:3], s[0:1]
	s_cbranch_execz .LBB0_15
; %bb.14:
	v_add_f16_e32 v13, v5, v13
	v_add_f16_e32 v13, v13, v14
	;; [unrolled: 1-line block ×12, first 2 shown]
	s_mov_b32 s1, 0xb461
	v_mul_f16_e32 v15, 0xbbb2, v74
	v_add_f16_e32 v13, v13, v25
	v_fma_f16 v16, v73, s1, -v15
	s_mov_b32 s0, 0xbbdd
	v_mul_f16_e32 v19, 0xb1e1, v74
	s_mov_b32 s6, 0xbacd
	v_mul_f16_e32 v21, 0x3836, v72
	v_add_f16_e32 v13, v13, v26
	v_add_f16_e32 v16, v5, v16
	v_fma_f16 v17, v73, s0, -v19
	v_fma_f16 v22, v71, s6, -v21
	s_movk_i32 s7, 0x3b76
	v_mul_f16_e32 v23, 0x35c8, v72
	s_movk_i32 s10, 0x39e9
	v_mul_f16_e32 v25, 0x3964, v67
	v_add_f16_e32 v13, v13, v27
	v_add_f16_e32 v17, v5, v17
	;; [unrolled: 1-line block ×3, first 2 shown]
	v_fma_f16 v24, v71, s7, -v23
	v_fma_f16 v26, v65, s10, -v25
	v_mul_f16_e32 v27, 0xb836, v67
	v_pack_b32_f16 v79, v65, v65
	v_add_f16_e32 v13, v13, v28
	v_add_f16_e32 v17, v24, v17
	v_mul_f16_e32 v24, 0x39e9, v65
	v_add_f16_e32 v16, v26, v16
	v_mul_f16_e32 v26, 0xbacd, v65
	v_fma_f16 v28, v65, s6, -v27
	s_movk_i32 s6, 0x3722
	v_mul_f16_e32 v65, 0xbb29, v62
	v_pack_b32_f16 v77, v71, v71
	v_pack_b32_f16 v80, v67, v67
	;; [unrolled: 1-line block ×3, first 2 shown]
	v_mul_f16_e32 v20, 0xbacd, v71
	v_mul_f16_e32 v22, 0x3b76, v71
	v_fma_f16 v67, v60, s6, -v65
	v_mul_f16_e32 v62, 0x3964, v62
	v_mul_f16_e32 v71, 0xb1e1, v56
	v_pack_b32_f16 v75, v73, v73
	v_pack_b32_f16 v78, v72, v72
	;; [unrolled: 1-line block ×4, first 2 shown]
	v_mul_f16_e32 v14, 0xb461, v73
	v_mul_f16_e32 v18, 0xbbdd, v73
	v_add_f16_e32 v17, v28, v17
	v_mul_f16_e32 v28, 0x3722, v60
	v_add_f16_e32 v16, v67, v16
	v_mul_f16_e32 v67, 0x39e9, v60
	v_fma_f16 v60, v60, s10, -v62
	v_fma_f16 v72, v54, s0, -v71
	s_mov_b32 s10, 0xb8d2
	v_mul_f16_e32 v56, 0xba62, v56
	s_movk_i32 s0, 0x2de8
	v_mul_f16_e32 v73, 0x3bf7, v51
	v_pack_b32_f16 v76, v74, v74
	v_pack_b32_f16 v83, v54, v54
	;; [unrolled: 1-line block ×3, first 2 shown]
	v_add_f16_e32 v17, v60, v17
	v_mul_f16_e32 v60, 0xbbdd, v54
	v_add_f16_e32 v16, v72, v16
	v_mul_f16_e32 v72, 0xb8d2, v54
	v_fma_f16 v54, v54, s10, -v56
	v_fma_f16 v74, v49, s0, -v73
	v_mul_f16_e32 v51, 0x3b29, v51
	v_mul_f16_e32 v91, 0xb5c8, v46
	v_pack_b32_f16 v85, v49, v49
	v_pack_b32_f16 v88, v46, v46
	v_add_f16_e32 v17, v54, v17
	v_mul_f16_e32 v54, 0x2de8, v49
	v_add_f16_e32 v16, v74, v16
	v_mul_f16_e32 v74, 0x3722, v49
	v_fma_f16 v49, v49, s6, -v51
	v_fma_f16 v92, v45, s7, -v91
	v_mul_f16_e32 v46, 0xbbb2, v46
	v_pack_b32_f16 v87, v45, v45
	v_add_f16_e32 v17, v49, v17
	v_mul_f16_e32 v49, 0x3b76, v45
	v_add_f16_e32 v16, v92, v16
	v_mul_f16_e32 v92, 0xb461, v45
	v_fma_f16 v45, v45, s1, -v46
	v_add_f16_e32 v45, v45, v17
	v_pk_add_f16 v17, v47, v48 neg_lo:[0,1] neg_hi:[0,1]
	v_pk_add_f16 v47, v50, v52 neg_lo:[0,1] neg_hi:[0,1]
	v_pk_add_f16 v17, v5, v17 op_sel_hi:[0,1]
	v_pk_add_f16 v17, v47, v17
	v_pk_add_f16 v47, v53, v55 neg_lo:[0,1] neg_hi:[0,1]
	s_mov_b32 s6, 0xbbf7bb29
	v_pk_add_f16 v17, v47, v17
	v_pk_add_f16 v47, v57, v58 neg_lo:[0,1] neg_hi:[0,1]
	s_mov_b32 s1, 0x2de83722
	v_pk_add_f16 v17, v47, v17
	v_pk_add_f16 v47, v59, v61 neg_lo:[0,1] neg_hi:[0,1]
	v_pk_mul_f16 v50, v76, s6
	v_pk_add_f16 v17, v47, v17
	v_pk_add_f16 v47, v63, v64 neg_lo:[0,1] neg_hi:[0,1]
	s_mov_b32 s6, 0xb1e1ba62
	v_pk_add_f16 v17, v47, v17
	v_pk_add_f16 v47, v66, v68 neg_lo:[0,1] neg_hi:[0,1]
	v_pk_mul_f16 v48, v75, s1
	v_pk_add_f16 v17, v47, v17
	v_pk_add_f16 v47, v69, v70 neg_lo:[0,1] neg_hi:[0,1]
	v_pk_mul_f16 v53, v78, s6
	v_pk_add_f16 v47, v47, v17
	v_pk_fma_f16 v17, v75, s1, v50 neg_lo:[0,0,1] neg_hi:[0,0,1]
	s_mov_b32 s1, 0xbbddb8d2
	s_mov_b32 s6, 0x3bb231e1
	v_pk_add_f16 v17, v5, v17 op_sel_hi:[0,1]
	v_pk_mul_f16 v52, v77, s1
	v_pk_fma_f16 v55, v77, s1, v53 neg_lo:[0,0,1] neg_hi:[0,0,1]
	s_mov_b32 s1, 0xb461bbdd
	v_pk_mul_f16 v57, v80, s6
	s_mov_b32 s6, 0x35c83bb2
	v_pk_add_f16 v17, v55, v17
	v_pk_mul_f16 v55, v79, s1
	v_pk_fma_f16 v58, v79, s1, v57 neg_lo:[0,0,1] neg_hi:[0,0,1]
	s_mov_b32 s1, 0x3b76b461
	v_pk_mul_f16 v59, v82, s6
	s_mov_b32 s6, 0xbb293964
	v_pk_add_f16 v17, v58, v17
	v_pk_mul_f16 v58, v81, s1
	v_pk_fma_f16 v61, v81, s1, v59 neg_lo:[0,0,1] neg_hi:[0,0,1]
	s_mov_b32 s1, 0x372239e9
	v_pk_mul_f16 v63, v84, s6
	s_mov_b32 s6, 0xb836b5c8
	v_pk_add_f16 v17, v61, v17
	v_pk_mul_f16 v61, v83, s1
	v_pk_fma_f16 v64, v83, s1, v63 neg_lo:[0,0,1] neg_hi:[0,0,1]
	s_mov_b32 s1, 0xbacd3b76
	v_pk_mul_f16 v66, v86, s6
	s_mov_b32 s6, 0x3a62bbf7
	v_pack_b32_f16 v90, v44, v44
	v_pk_add_f16 v17, v64, v17
	v_pk_mul_f16 v64, v85, s1
	v_pk_fma_f16 v68, v85, s1, v66 neg_lo:[0,0,1] neg_hi:[0,0,1]
	s_mov_b32 s1, 0xb8d22de8
	v_pk_mul_f16 v69, v88, s6
	s_mov_b32 s6, 0x3964b836
	v_pack_b32_f16 v89, v43, v43
	v_pk_add_f16 v17, v68, v17
	v_pk_mul_f16 v68, v87, s1
	v_pk_fma_f16 v70, v87, s1, v69 neg_lo:[0,0,1] neg_hi:[0,0,1]
	s_mov_b32 s1, 0x39e9bacd
	v_pk_mul_f16 v94, v90, s6
	s_mov_b32 s6, 0xb964bb29
	v_pk_add_f16 v70, v70, v17
	v_pk_mul_f16 v93, v89, s1
	v_pk_fma_f16 v95, v89, s1, v94 neg_lo:[0,0,1] neg_hi:[0,0,1]
	s_mov_b32 s1, 0x39e93722
	v_pk_mul_f16 v17, v76, s6
	s_mov_b32 s6, 0xbbf7ba62
	v_pk_fma_f16 v17, v75, s1, v17
	s_mov_b32 s1, 0x2de8b8d2
	v_pk_mul_f16 v96, v78, s6
	v_pk_add_f16 v17, v5, v17 op_sel_hi:[0,1]
	v_pk_fma_f16 v96, v77, s1, v96
	s_mov_b32 s6, 0xba6231e1
	v_pk_add_f16 v17, v96, v17
	s_mov_b32 s1, 0xb8d2bbdd
	v_pk_mul_f16 v96, v80, s6
	s_mov_b32 s6, 0xb1e13bb2
	v_pk_fma_f16 v96, v79, s1, v96
	s_mov_b32 s1, 0xbbddb461
	v_pk_add_f16 v17, v96, v17
	v_pk_mul_f16 v96, v82, s6
	s_mov_b32 s6, 0x38363964
	v_pk_fma_f16 v96, v81, s1, v96
	s_mov_b32 s1, 0xbacd39e9
	v_pk_add_f16 v17, v96, v17
	;; [unrolled: 5-line block ×5, first 2 shown]
	v_pk_mul_f16 v96, v90, s6
	v_pk_add_f16 v70, v95, v70
	v_pk_fma_f16 v96, v89, s1, v96
	s_mov_b32 s1, 0xffff
	v_pk_add_f16 v17, v96, v17
	v_mul_f16_e32 v96, 0xba62, v44
	v_fma_f16 v97, v43, s10, -v96
	v_bfi_b32 v14, s1, v14, v48
	v_bfi_b32 v15, s1, v15, v50
	v_add_f16_e32 v97, v97, v16
	v_pk_add_f16 v14, v14, v15
	v_bfi_b32 v15, s1, v20, v52
	v_bfi_b32 v16, s1, v21, v53
	v_pk_add_f16 v14, v5, v14 op_sel_hi:[0,1]
	v_pk_add_f16 v15, v15, v16
	v_bfi_b32 v16, s1, v25, v57
	v_pk_add_f16 v14, v15, v14
	v_bfi_b32 v15, s1, v24, v55
	v_pk_add_f16 v15, v15, v16
	v_bfi_b32 v16, s1, v65, v59
	v_pk_add_f16 v14, v15, v14
	v_bfi_b32 v15, s1, v28, v58
	v_pk_add_f16 v15, v15, v16
	v_bfi_b32 v16, s1, v71, v63
	v_pk_add_f16 v14, v15, v14
	v_bfi_b32 v15, s1, v60, v61
	v_pk_add_f16 v15, v15, v16
	v_bfi_b32 v16, s1, v73, v66
	v_pk_add_f16 v14, v15, v14
	v_bfi_b32 v15, s1, v54, v64
	v_pk_add_f16 v15, v15, v16
	v_bfi_b32 v16, s1, v91, v69
	v_pk_add_f16 v14, v15, v14
	v_bfi_b32 v15, s1, v49, v68
	v_mul_f16_e32 v95, 0xb8d2, v43
	v_pk_add_f16 v15, v15, v16
	v_bfi_b32 v16, s1, v96, v94
	v_pk_add_f16 v14, v15, v14
	v_bfi_b32 v15, s1, v95, v93
	v_pk_add_f16 v15, v15, v16
	s_mov_b32 s7, 0xb836ba62
	v_pk_add_f16 v16, v15, v14
	s_mov_b32 s6, 0xbacdb8d2
	v_pk_mul_f16 v15, v76, s7
	v_pk_mul_f16 v14, v75, s6
	v_pk_fma_f16 v21, v75, s6, v15 neg_lo:[0,0,1] neg_hi:[0,0,1]
	s_mov_b32 s6, 0x3722b461
	s_mov_b32 s7, 0x3b293bb2
	v_add_f16_e32 v20, v14, v15
	v_pk_mul_f16 v24, v77, s6
	v_pk_mul_f16 v25, v78, s7
	v_add_f16_e32 v20, v5, v20
	v_add_f16_e32 v28, v24, v25
	v_pk_add_f16 v21, v5, v21 op_sel_hi:[0,1]
	v_add_f16_e32 v20, v28, v20
	v_pk_fma_f16 v28, v77, s6, v25 neg_lo:[0,0,1] neg_hi:[0,0,1]
	s_mov_b32 s6, 0x2de83b76
	s_mov_b32 s7, 0xbbf7b5c8
	v_pk_add_f16 v21, v28, v21
	v_pk_mul_f16 v28, v79, s6
	v_pk_mul_f16 v48, v80, s7
	s_mov_b32 s7, 0x3a62b836
	v_add_f16_e32 v49, v28, v48
	v_add_f16_e32 v20, v49, v20
	v_pk_fma_f16 v49, v79, s6, v48 neg_lo:[0,0,1] neg_hi:[0,0,1]
	s_mov_b32 s6, 0xb8d2bacd
	v_pk_add_f16 v21, v49, v21
	v_pk_mul_f16 v49, v81, s6
	v_pk_mul_f16 v50, v82, s7
	v_bfi_b32 v14, s1, v18, v14
	v_add_f16_e32 v52, v49, v50
	v_bfi_b32 v15, s1, v19, v15
	v_add_f16_e32 v20, v52, v20
	v_pk_fma_f16 v52, v81, s6, v50 neg_lo:[0,0,1] neg_hi:[0,0,1]
	s_mov_b32 s6, 0x3b762de8
	s_mov_b32 s7, 0xb5c83bf7
	v_pk_add_f16 v14, v14, v15
	v_pk_add_f16 v21, v52, v21
	v_pk_mul_f16 v52, v83, s6
	v_pk_mul_f16 v53, v84, s7
	v_pk_add_f16 v5, v5, v14 op_sel_hi:[0,1]
	v_bfi_b32 v14, s1, v22, v24
	v_bfi_b32 v15, s1, v23, v25
	v_add_f16_e32 v54, v52, v53
	v_pk_add_f16 v14, v14, v15
	v_add_f16_e32 v20, v54, v20
	v_pk_fma_f16 v54, v83, s6, v53 neg_lo:[0,0,1] neg_hi:[0,0,1]
	s_mov_b32 s6, 0xbbdd39e9
	s_mov_b32 s7, 0xb1e1b964
	v_pk_add_f16 v5, v14, v5
	v_bfi_b32 v14, s1, v26, v28
	v_bfi_b32 v15, s1, v27, v48
	v_pk_add_f16 v21, v54, v21
	v_pk_mul_f16 v54, v85, s6
	v_pk_mul_f16 v55, v86, s7
	v_pk_add_f16 v14, v14, v15
	v_add_f16_e32 v57, v54, v55
	v_pk_add_f16 v5, v14, v5
	v_bfi_b32 v14, s1, v67, v49
	v_bfi_b32 v15, s1, v62, v50
	v_add_f16_e32 v20, v57, v20
	v_pk_fma_f16 v57, v85, s6, v55 neg_lo:[0,0,1] neg_hi:[0,0,1]
	s_mov_b32 s6, 0x39e9bbdd
	s_mov_b32 s7, 0x3964b1e1
	v_pk_add_f16 v14, v14, v15
	v_pk_add_f16 v21, v57, v21
	v_pk_mul_f16 v57, v87, s6
	v_pk_mul_f16 v58, v88, s7
	v_pk_add_f16 v5, v14, v5
	v_bfi_b32 v14, s1, v72, v52
	v_bfi_b32 v15, s1, v56, v53
	v_add_f16_e32 v59, v57, v58
	v_pk_add_f16 v14, v14, v15
	v_add_f16_e32 v20, v59, v20
	v_pk_fma_f16 v59, v87, s6, v58 neg_lo:[0,0,1] neg_hi:[0,0,1]
	s_mov_b32 s6, 0xb4613722
	s_mov_b32 s7, 0xbbb23b29
	v_pk_add_f16 v5, v14, v5
	v_bfi_b32 v14, s1, v74, v54
	v_bfi_b32 v15, s1, v51, v55
	v_pk_add_f16 v21, v59, v21
	v_pk_mul_f16 v59, v89, s6
	v_pk_mul_f16 v60, v90, s7
	v_pk_add_f16 v14, v14, v15
	v_add_f16_e32 v63, v59, v60
	v_pk_add_f16 v5, v14, v5
	v_bfi_b32 v14, s1, v92, v57
	v_bfi_b32 v15, s1, v46, v58
	v_add_f16_e32 v63, v63, v20
	v_mul_f16_e32 v20, 0x2de8, v43
	v_mul_f16_e32 v44, 0x3bf7, v44
	v_pk_add_f16 v14, v14, v15
	v_bfi_b32 v15, s1, v44, v60
	v_pk_add_f16 v5, v14, v5
	v_bfi_b32 v14, s1, v20, v59
	v_fma_f16 v43, v43, s0, -v44
	v_pk_add_f16 v14, v14, v15
	v_pk_fma_f16 v61, v89, s6, v60 neg_lo:[0,0,1] neg_hi:[0,0,1]
	v_add_f16_e32 v43, v43, v45
	v_pk_add_f16 v5, v14, v5
	v_pk_add_f16 v21, v61, v21
	v_lshl_add_u32 v22, v2, 5, v10
	v_alignbit_b32 v20, v97, v70, 16
	v_alignbit_b32 v19, v70, v47, 16
	v_pack_b32_f16 v18, v13, v47
	v_alignbit_b32 v15, v63, v5, 16
	v_pack_b32_f16 v14, v43, v5
	ds_write_b128 v22, v[18:21]
	ds_write_b128 v22, v[14:17] offset:16
	ds_write_b16 v22, v7 offset:32
.LBB0_15:
	s_or_b64 exec, exec, s[2:3]
	v_add_u32_e32 v17, 51, v2
	s_movk_i32 s0, 0xf1
	v_mul_lo_u16_sdwa v21, v17, s0 dst_sel:DWORD dst_unused:UNUSED_PAD src0_sel:BYTE_0 src1_sel:DWORD
	v_lshrrev_b16_e32 v21, 12, v21
	v_add_u32_e32 v16, 0x66, v2
	v_mul_lo_u16_e32 v22, 17, v21
	v_sub_u16_e32 v23, v17, v22
	v_mul_lo_u16_sdwa v22, v16, s0 dst_sel:DWORD dst_unused:UNUSED_PAD src0_sel:BYTE_0 src1_sel:DWORD
	v_lshrrev_b16_e32 v28, 12, v22
	v_add_u32_e32 v15, 0x99, v2
	v_mul_lo_u16_e32 v22, 17, v28
	v_sub_u16_e32 v43, v16, v22
	;; [unrolled: 5-line block ×3, first 2 shown]
	v_mul_lo_u16_sdwa v22, v14, s0 dst_sel:DWORD dst_unused:UNUSED_PAD src0_sel:BYTE_0 src1_sel:DWORD
	v_lshrrev_b16_e32 v69, 12, v22
	v_add_u32_e32 v13, 0xff, v2
	v_mul_lo_u16_sdwa v5, v2, s0 dst_sel:DWORD dst_unused:UNUSED_PAD src0_sel:BYTE_0 src1_sel:DWORD
	v_mul_lo_u16_e32 v22, 17, v69
	s_mov_b32 s0, 0xf0f1
	v_sub_u16_e32 v70, v14, v22
	v_mul_u32_u24_sdwa v22, v13, s0 dst_sel:DWORD dst_unused:UNUSED_PAD src0_sel:WORD_0 src1_sel:DWORD
	v_lshrrev_b32_e32 v71, 20, v22
	v_mul_lo_u16_e32 v22, 17, v71
	v_lshrrev_b16_e32 v18, 12, v5
	v_sub_u16_e32 v72, v13, v22
	v_mul_u32_u24_sdwa v22, v4, s0 dst_sel:DWORD dst_unused:UNUSED_PAD src0_sel:WORD_0 src1_sel:DWORD
	v_mul_lo_u16_e32 v5, 17, v18
	v_lshrrev_b32_e32 v73, 20, v22
	v_sub_u16_e32 v19, v2, v5
	v_mov_b32_e32 v5, 2
	v_mul_lo_u16_e32 v22, 17, v73
	v_lshlrev_b32_sdwa v20, v5, v19 dst_sel:DWORD dst_unused:UNUSED_PAD src0_sel:DWORD src1_sel:BYTE_0
	v_lshlrev_b32_sdwa v27, v5, v23 dst_sel:DWORD dst_unused:UNUSED_PAD src0_sel:DWORD src1_sel:BYTE_0
	;; [unrolled: 1-line block ×5, first 2 shown]
	v_sub_u16_e32 v74, v4, v22
	s_waitcnt lgkmcnt(0)
	; wave barrier
	s_waitcnt lgkmcnt(0)
	v_lshlrev_b32_e32 v49, 2, v72
	v_lshlrev_b32_e32 v50, 2, v74
	global_load_dword v46, v20, s[4:5]
	global_load_dword v45, v27, s[4:5]
	;; [unrolled: 1-line block ×7, first 2 shown]
	v_mul_u32_u24_sdwa v5, v6, s0 dst_sel:DWORD dst_unused:UNUSED_PAD src0_sel:WORD_0 src1_sel:DWORD
	v_lshrrev_b32_e32 v20, 20, v5
	v_mul_lo_u16_e32 v5, 17, v20
	v_sub_u16_e32 v27, v6, v5
	v_lshlrev_b32_e32 v5, 2, v27
	global_load_dword v54, v5, s[4:5]
	ds_read_u16 v56, v10 offset:918
	ds_read_u16 v53, v10
	ds_read_u16 v52, v10 offset:102
	ds_read_u16 v50, v10 offset:204
	;; [unrolled: 1-line block ×11, first 2 shown]
	ds_read_u16 v51, v12
	ds_read_u16 v55, v11
	ds_read_u16 v59, v10 offset:1530
	v_mul_u32_u24_e32 v18, 0x44, v18
	s_mov_b32 s1, 0x5040100
	s_movk_i32 s0, 0x44
	s_waitcnt lgkmcnt(0)
	; wave barrier
	s_waitcnt vmcnt(7) lgkmcnt(0)
	v_mul_f16_sdwa v5, v63, v46 dst_sel:DWORD dst_unused:UNUSED_PAD src0_sel:DWORD src1_sel:WORD_1
	v_fma_f16 v5, v9, v46, v5
	s_waitcnt vmcnt(6)
	v_mul_f16_sdwa v64, v56, v45 dst_sel:DWORD dst_unused:UNUSED_PAD src0_sel:DWORD src1_sel:WORD_1
	v_sub_f16_e32 v79, v40, v5
	s_waitcnt vmcnt(5)
	v_mul_f16_sdwa v65, v62, v44 dst_sel:DWORD dst_unused:UNUSED_PAD src0_sel:DWORD src1_sel:WORD_1
	v_fma_f16 v64, v8, v45, v64
	s_waitcnt vmcnt(4)
	v_mul_f16_sdwa v66, v61, v26 dst_sel:DWORD dst_unused:UNUSED_PAD src0_sel:DWORD src1_sel:WORD_1
	v_fma_f16 v65, v34, v44, v65
	v_sub_f16_e32 v80, v38, v64
	v_fma_f16 v66, v32, v26, v66
	v_sub_f16_e32 v81, v35, v65
	v_sub_f16_e32 v82, v36, v66
	s_waitcnt vmcnt(0)
	v_mul_f16_sdwa v78, v59, v54 dst_sel:DWORD dst_unused:UNUSED_PAD src0_sel:DWORD src1_sel:WORD_1
	v_fma_f16 v78, v33, v54, v78
	v_sub_f16_e32 v5, v41, v78
	v_mov_b32_e32 v78, 1
	v_lshlrev_b32_sdwa v19, v78, v19 dst_sel:DWORD dst_unused:UNUSED_PAD src0_sel:DWORD src1_sel:BYTE_0
	v_add3_u32 v64, 0, v18, v19
	v_mul_u32_u24_e32 v18, 0x44, v21
	v_lshlrev_b32_sdwa v19, v78, v23 dst_sel:DWORD dst_unused:UNUSED_PAD src0_sel:DWORD src1_sel:BYTE_0
	v_add3_u32 v65, 0, v18, v19
	v_mul_u32_u24_e32 v18, 0x44, v28
	;; [unrolled: 3-line block ×5, first 2 shown]
	v_lshlrev_b32_e32 v19, 1, v72
	v_add3_u32 v69, 0, v18, v19
	v_perm_b32 v18, v20, v73, s1
	v_mul_f16_sdwa v75, v60, v25 dst_sel:DWORD dst_unused:UNUSED_PAD src0_sel:DWORD src1_sel:WORD_1
	v_mul_f16_sdwa v76, v58, v24 dst_sel:DWORD dst_unused:UNUSED_PAD src0_sel:DWORD src1_sel:WORD_1
	v_mul_f16_sdwa v77, v57, v22 dst_sel:DWORD dst_unused:UNUSED_PAD src0_sel:DWORD src1_sel:WORD_1
	v_pk_mul_lo_u16 v18, v18, s0 op_sel_hi:[1,0]
	v_fma_f16 v75, v31, v25, v75
	v_fma_f16 v76, v29, v24, v76
	;; [unrolled: 1-line block ×3, first 2 shown]
	v_and_b32_e32 v19, 0xfffc, v18
	v_lshlrev_b32_e32 v20, 1, v74
	v_sub_f16_e32 v75, v37, v75
	v_sub_f16_e32 v76, v39, v76
	;; [unrolled: 1-line block ×3, first 2 shown]
	v_add3_u32 v70, 0, v19, v20
	v_lshrrev_b32_e32 v18, 16, v18
	v_lshlrev_b32_e32 v19, 1, v27
	v_fma_f16 v40, v40, 2.0, -v79
	v_fma_f16 v38, v38, 2.0, -v80
	;; [unrolled: 1-line block ×8, first 2 shown]
	v_add3_u32 v71, 0, v18, v19
	ds_write_b16 v64, v40
	ds_write_b16 v64, v79 offset:34
	ds_write_b16 v65, v38
	ds_write_b16 v65, v80 offset:34
	;; [unrolled: 2-line block ×8, first 2 shown]
	s_waitcnt lgkmcnt(0)
	; wave barrier
	s_waitcnt lgkmcnt(0)
	ds_read_u16 v28, v10 offset:646
	ds_read_u16 v27, v10 offset:748
	ds_read_u16 v23, v10
	ds_read_u16 v21, v10 offset:102
	ds_read_u16 v20, v10 offset:204
	;; [unrolled: 1-line block ×12, first 2 shown]
	v_cmp_gt_u32_e64 s[0:1], 17, v2
                                        ; implicit-def: $vgpr38
	s_and_saveexec_b64 s[2:3], s[0:1]
	s_cbranch_execz .LBB0_17
; %bb.16:
	ds_read_u16 v5, v10 offset:510
	ds_read_u16 v3, v10 offset:1054
	;; [unrolled: 1-line block ×3, first 2 shown]
.LBB0_17:
	s_or_b64 exec, exec, s[2:3]
	v_mul_f16_sdwa v29, v29, v24 dst_sel:DWORD dst_unused:UNUSED_PAD src0_sel:DWORD src1_sel:WORD_1
	v_fma_f16 v24, v58, v24, -v29
	v_mul_f16_sdwa v29, v30, v22 dst_sel:DWORD dst_unused:UNUSED_PAD src0_sel:DWORD src1_sel:WORD_1
	v_mul_f16_sdwa v9, v9, v46 dst_sel:DWORD dst_unused:UNUSED_PAD src0_sel:DWORD src1_sel:WORD_1
	;; [unrolled: 1-line block ×6, first 2 shown]
	v_fma_f16 v22, v57, v22, -v29
	v_mul_f16_sdwa v29, v33, v54 dst_sel:DWORD dst_unused:UNUSED_PAD src0_sel:DWORD src1_sel:WORD_1
	v_fma_f16 v9, v63, v46, -v9
	v_fma_f16 v8, v56, v45, -v8
	;; [unrolled: 1-line block ×6, first 2 shown]
	v_sub_f16_e32 v9, v53, v9
	v_sub_f16_e32 v31, v52, v8
	;; [unrolled: 1-line block ×8, first 2 shown]
	v_fma_f16 v30, v53, 2.0, -v9
	v_fma_f16 v32, v52, 2.0, -v31
	;; [unrolled: 1-line block ×8, first 2 shown]
	s_waitcnt lgkmcnt(0)
	; wave barrier
	s_waitcnt lgkmcnt(0)
	ds_write_b16 v64, v30
	ds_write_b16 v64, v9 offset:34
	ds_write_b16 v65, v32
	ds_write_b16 v65, v31 offset:34
	;; [unrolled: 2-line block ×8, first 2 shown]
	s_waitcnt lgkmcnt(0)
	; wave barrier
	s_waitcnt lgkmcnt(0)
	ds_read_u16 v30, v10 offset:646
	ds_read_u16 v29, v10 offset:748
	ds_read_u16 v26, v10
	ds_read_u16 v25, v10 offset:102
	ds_read_u16 v24, v10 offset:204
	;; [unrolled: 1-line block ×12, first 2 shown]
                                        ; implicit-def: $vgpr33
	s_and_saveexec_b64 s[2:3], s[0:1]
	s_cbranch_execz .LBB0_19
; %bb.18:
	ds_read_u16 v8, v10 offset:510
	ds_read_u16 v7, v10 offset:1054
	;; [unrolled: 1-line block ×3, first 2 shown]
.LBB0_19:
	s_or_b64 exec, exec, s[2:3]
	v_subrev_u32_e32 v49, 34, v2
	v_cmp_gt_u32_e64 s[2:3], 34, v2
	v_mov_b32_e32 v57, 0
	v_mov_b32_e32 v52, 3
	v_cndmask_b32_e64 v49, v49, v2, s[2:3]
	s_movk_i32 s2, 0xf1
	v_mul_lo_u16_sdwa v54, v16, s2 dst_sel:DWORD dst_unused:UNUSED_PAD src0_sel:BYTE_0 src1_sel:DWORD
	v_lshrrev_b16_e32 v66, 13, v54
	v_lshlrev_b32_e32 v56, 1, v49
	v_mul_lo_u16_sdwa v49, v17, s2 dst_sel:DWORD dst_unused:UNUSED_PAD src0_sel:BYTE_0 src1_sel:DWORD
	v_mul_lo_u16_e32 v54, 34, v66
	v_lshl_add_u64 v[50:51], v[56:57], 2, s[4:5]
	v_lshrrev_b16_e32 v57, 13, v49
	v_sub_u16_e32 v67, v16, v54
	v_mul_lo_u16_sdwa v54, v15, s2 dst_sel:DWORD dst_unused:UNUSED_PAD src0_sel:BYTE_0 src1_sel:DWORD
	v_mul_lo_u16_e32 v49, 34, v57
	v_lshrrev_b16_e32 v68, 13, v54
	v_sub_u16_e32 v49, v17, v49
	v_mul_lo_u16_e32 v54, 34, v68
	v_lshlrev_b32_sdwa v53, v52, v49 dst_sel:DWORD dst_unused:UNUSED_PAD src0_sel:DWORD src1_sel:BYTE_0
	v_sub_u16_e32 v69, v15, v54
	global_load_dwordx2 v[50:51], v[50:51], off offset:68
	v_lshlrev_b32_sdwa v62, v52, v67 dst_sel:DWORD dst_unused:UNUSED_PAD src0_sel:DWORD src1_sel:BYTE_0
	global_load_dwordx2 v[54:55], v53, s[4:5] offset:68
	v_lshlrev_b32_sdwa v53, v52, v69 dst_sel:DWORD dst_unused:UNUSED_PAD src0_sel:DWORD src1_sel:BYTE_0
	global_load_dwordx2 v[58:59], v62, s[4:5] offset:68
	global_load_dwordx2 v[60:61], v53, s[4:5] offset:68
	v_mul_lo_u16_sdwa v53, v14, s2 dst_sel:DWORD dst_unused:UNUSED_PAD src0_sel:BYTE_0 src1_sel:DWORD
	v_lshrrev_b16_e32 v70, 13, v53
	v_mul_lo_u16_e32 v53, 34, v70
	s_mov_b32 s2, 0xf0f1
	v_sub_u16_e32 v53, v14, v53
	v_mul_u32_u24_sdwa v62, v13, s2 dst_sel:DWORD dst_unused:UNUSED_PAD src0_sel:WORD_0 src1_sel:DWORD
	v_lshlrev_b32_sdwa v52, v52, v53 dst_sel:DWORD dst_unused:UNUSED_PAD src0_sel:DWORD src1_sel:BYTE_0
	v_lshrrev_b32_e32 v64, 21, v62
	global_load_dwordx2 v[62:63], v52, s[4:5] offset:68
	v_mul_lo_u16_e32 v52, 34, v64
	v_sub_u16_e32 v71, v13, v52
	v_lshlrev_b32_e32 v52, 3, v71
	global_load_dwordx2 v[64:65], v52, s[4:5] offset:68
	v_mov_b32_e32 v52, 1
	v_lshlrev_b32_sdwa v72, v52, v49 dst_sel:DWORD dst_unused:UNUSED_PAD src0_sel:DWORD src1_sel:BYTE_0
	v_lshlrev_b32_sdwa v67, v52, v67 dst_sel:DWORD dst_unused:UNUSED_PAD src0_sel:DWORD src1_sel:BYTE_0
	;; [unrolled: 1-line block ×4, first 2 shown]
	s_mov_b32 s6, 0xbaee
	s_movk_i32 s7, 0x3aee
	v_cmp_lt_u32_e64 s[2:3], 33, v2
	s_waitcnt lgkmcnt(0)
	; wave barrier
	s_waitcnt vmcnt(5) lgkmcnt(0)
	v_mul_f16_sdwa v49, v47, v50 dst_sel:DWORD dst_unused:UNUSED_PAD src0_sel:DWORD src1_sel:WORD_1
	v_mul_f16_sdwa v52, v42, v50 dst_sel:DWORD dst_unused:UNUSED_PAD src0_sel:DWORD src1_sel:WORD_1
	;; [unrolled: 1-line block ×4, first 2 shown]
	v_fma_f16 v42, v42, v50, v49
	v_fma_f16 v47, v47, v50, -v52
	s_waitcnt vmcnt(4)
	v_mul_f16_sdwa v50, v28, v54 dst_sel:DWORD dst_unused:UNUSED_PAD src0_sel:DWORD src1_sel:WORD_1
	s_waitcnt vmcnt(3)
	v_mul_f16_sdwa v75, v27, v58 dst_sel:DWORD dst_unused:UNUSED_PAD src0_sel:DWORD src1_sel:WORD_1
	v_fma_f16 v43, v43, v51, v53
	v_fma_f16 v48, v48, v51, -v74
	v_mul_f16_sdwa v74, v29, v58 dst_sel:DWORD dst_unused:UNUSED_PAD src0_sel:DWORD src1_sel:WORD_1
	v_fma_f16 v53, v30, v54, -v50
	v_fma_f16 v50, v29, v58, -v75
	v_mul_f16_sdwa v49, v30, v54 dst_sel:DWORD dst_unused:UNUSED_PAD src0_sel:DWORD src1_sel:WORD_1
	v_mul_f16_sdwa v51, v46, v55 dst_sel:DWORD dst_unused:UNUSED_PAD src0_sel:DWORD src1_sel:WORD_1
	;; [unrolled: 1-line block ×4, first 2 shown]
	s_waitcnt vmcnt(0)
	v_mul_f16_sdwa v87, v3, v64 dst_sel:DWORD dst_unused:UNUSED_PAD src0_sel:DWORD src1_sel:WORD_1
	v_mul_f16_sdwa v86, v7, v64 dst_sel:DWORD dst_unused:UNUSED_PAD src0_sel:DWORD src1_sel:WORD_1
	v_fma_f16 v29, v7, v64, -v87
	v_mul_f16_sdwa v7, v33, v65 dst_sel:DWORD dst_unused:UNUSED_PAD src0_sel:DWORD src1_sel:WORD_1
	v_mul_f16_sdwa v79, v35, v60 dst_sel:DWORD dst_unused:UNUSED_PAD src0_sel:DWORD src1_sel:WORD_1
	v_fma_f16 v30, v38, v65, v7
	v_mul_f16_sdwa v7, v38, v65 dst_sel:DWORD dst_unused:UNUSED_PAD src0_sel:DWORD src1_sel:WORD_1
	v_mul_f16_sdwa v77, v40, v59 dst_sel:DWORD dst_unused:UNUSED_PAD src0_sel:DWORD src1_sel:WORD_1
	;; [unrolled: 1-line block ×3, first 2 shown]
	v_fma_f16 v49, v28, v54, v49
	v_fma_f16 v51, v41, v55, v51
	v_fma_f16 v54, v46, v55, -v52
	v_fma_f16 v46, v40, v59, v76
	v_fma_f16 v40, v31, v60, -v79
	v_fma_f16 v31, v33, v65, -v7
	v_add_f16_e32 v33, v42, v43
	v_mul_f16_sdwa v84, v32, v63 dst_sel:DWORD dst_unused:UNUSED_PAD src0_sel:DWORD src1_sel:WORD_1
	v_add_f16_e32 v7, v23, v42
	v_fma_f16 v23, v33, -0.5, v23
	v_sub_f16_e32 v33, v47, v48
	v_add_f16_e32 v38, v49, v51
	v_mul_f16_sdwa v81, v37, v61 dst_sel:DWORD dst_unused:UNUSED_PAD src0_sel:DWORD src1_sel:WORD_1
	v_mul_f16_sdwa v83, v39, v62 dst_sel:DWORD dst_unused:UNUSED_PAD src0_sel:DWORD src1_sel:WORD_1
	;; [unrolled: 1-line block ×3, first 2 shown]
	v_fma_f16 v41, v27, v58, v74
	v_fma_f16 v28, v36, v63, v84
	;; [unrolled: 1-line block ×4, first 2 shown]
	v_add_f16_e32 v33, v21, v49
	v_fma_f16 v21, v38, -0.5, v21
	v_sub_f16_e32 v38, v53, v54
	v_mul_f16_sdwa v80, v34, v61 dst_sel:DWORD dst_unused:UNUSED_PAD src0_sel:DWORD src1_sel:WORD_1
	v_mul_f16_sdwa v82, v44, v62 dst_sel:DWORD dst_unused:UNUSED_PAD src0_sel:DWORD src1_sel:WORD_1
	v_fma_f16 v52, v45, v59, -v77
	v_fma_f16 v45, v34, v61, -v81
	;; [unrolled: 1-line block ×3, first 2 shown]
	v_fma_f16 v44, v38, s6, v21
	v_fma_f16 v21, v38, s7, v21
	v_add_f16_e32 v38, v20, v41
	v_add_f16_e32 v55, v38, v46
	;; [unrolled: 1-line block ×3, first 2 shown]
	v_fma_f16 v35, v35, v60, v78
	v_fma_f16 v20, v38, -0.5, v20
	v_sub_f16_e32 v38, v50, v52
	v_fma_f16 v37, v37, v61, v80
	v_fma_f16 v58, v38, s6, v20
	;; [unrolled: 1-line block ×3, first 2 shown]
	v_add_f16_e32 v38, v19, v35
	v_add_f16_e32 v59, v38, v37
	;; [unrolled: 1-line block ×3, first 2 shown]
	v_fma_f16 v27, v39, v62, v82
	v_fma_f16 v19, v38, -0.5, v19
	v_sub_f16_e32 v38, v40, v45
	v_fma_f16 v60, v38, s6, v19
	v_fma_f16 v19, v38, s7, v19
	v_add_f16_e32 v38, v18, v27
	v_fma_f16 v32, v32, v63, -v85
	v_add_f16_e32 v61, v38, v28
	v_add_f16_e32 v38, v27, v28
	v_fma_f16 v18, v38, -0.5, v18
	v_sub_f16_e32 v38, v34, v32
	v_fma_f16 v62, v38, s6, v18
	v_fma_f16 v18, v38, s7, v18
	v_mov_b32_e32 v38, 0xcc
	v_cndmask_b32_e64 v38, 0, v38, s[2:3]
	v_add_f16_e32 v7, v7, v43
	v_add3_u32 v38, 0, v38, v56
	ds_write_b16 v38, v7
	ds_write_b16 v38, v36 offset:68
	ds_write_b16 v38, v23 offset:136
	v_mul_u32_u24_e32 v7, 0xcc, v57
	v_add_f16_e32 v33, v33, v51
	v_add3_u32 v39, 0, v7, v72
	v_mul_u32_u24_e32 v7, 0xcc, v66
	ds_write_b16 v39, v33
	ds_write_b16 v39, v44 offset:68
	ds_write_b16 v39, v21 offset:136
	v_add3_u32 v44, 0, v7, v67
	v_mul_u32_u24_e32 v7, 0xcc, v68
	ds_write_b16 v44, v55
	ds_write_b16 v44, v58 offset:68
	ds_write_b16 v44, v20 offset:136
	v_add3_u32 v55, 0, v7, v69
	v_mul_u32_u24_e32 v7, 0xcc, v70
	v_fma_f16 v3, v3, v64, v86
	v_add3_u32 v56, 0, v7, v73
	v_lshl_add_u32 v36, v71, 1, 0
	ds_write_b16 v55, v59
	ds_write_b16 v55, v60 offset:68
	ds_write_b16 v55, v19 offset:136
	ds_write_b16 v56, v61
	ds_write_b16 v56, v62 offset:68
	ds_write_b16 v56, v18 offset:136
	s_and_saveexec_b64 s[2:3], s[0:1]
	s_cbranch_execz .LBB0_21
; %bb.20:
	v_add_f16_e32 v7, v3, v30
	v_fma_f16 v7, v7, -0.5, v5
	v_add_f16_e32 v5, v5, v3
	v_sub_f16_e32 v18, v29, v31
	v_add_f16_e32 v5, v5, v30
	v_fma_f16 v19, v18, s7, v7
	v_fma_f16 v7, v18, s6, v7
	ds_write_b16 v36, v5 offset:1428
	ds_write_b16 v36, v7 offset:1496
	;; [unrolled: 1-line block ×3, first 2 shown]
.LBB0_21:
	s_or_b64 exec, exec, s[2:3]
	v_add_f16_e32 v5, v26, v47
	v_add_f16_e32 v57, v5, v48
	v_add_f16_e32 v5, v47, v48
	v_fma_f16 v5, v5, -0.5, v26
	v_sub_f16_e32 v7, v42, v43
	v_fma_f16 v42, v7, s7, v5
	v_fma_f16 v43, v7, s6, v5
	v_add_f16_e32 v5, v25, v53
	v_add_f16_e32 v47, v5, v54
	v_add_f16_e32 v5, v53, v54
	v_fma_f16 v5, v5, -0.5, v25
	v_sub_f16_e32 v7, v49, v51
	v_fma_f16 v48, v7, s7, v5
	v_fma_f16 v49, v7, s6, v5
	;; [unrolled: 7-line block ×5, first 2 shown]
	s_waitcnt lgkmcnt(0)
	; wave barrier
	s_waitcnt lgkmcnt(0)
	ds_read_u16 v28, v10 offset:918
	ds_read_u16 v25, v10
	ds_read_u16 v22, v10 offset:102
	ds_read_u16 v21, v10 offset:204
	ds_read_u16 v19, v10 offset:306
	ds_read_u16 v18, v10 offset:408
	ds_read_u16 v34, v10 offset:816
	ds_read_u16 v7, v10 offset:510
	ds_read_u16 v33, v10 offset:1020
	ds_read_u16 v32, v10 offset:1122
	ds_read_u16 v26, v10 offset:1224
	ds_read_u16 v23, v10 offset:1326
	ds_read_u16 v24, v10 offset:1428
	ds_read_u16 v5, v12
	ds_read_u16 v20, v11
	ds_read_u16 v27, v10 offset:1530
	s_waitcnt lgkmcnt(0)
	; wave barrier
	s_waitcnt lgkmcnt(0)
	ds_write_b16 v38, v57
	ds_write_b16 v38, v42 offset:68
	ds_write_b16 v38, v43 offset:136
	ds_write_b16 v39, v47
	ds_write_b16 v39, v48 offset:68
	ds_write_b16 v39, v49 offset:136
	;; [unrolled: 3-line block ×5, first 2 shown]
	s_and_saveexec_b64 s[2:3], s[0:1]
	s_cbranch_execz .LBB0_23
; %bb.22:
	v_add_f16_e32 v9, v8, v29
	v_add_f16_e32 v29, v29, v31
	v_fma_f16 v8, v29, -0.5, v8
	v_sub_f16_e32 v3, v3, v30
	s_movk_i32 s0, 0x3aee
	v_add_f16_e32 v9, v9, v31
	v_fma_f16 v29, v3, s0, v8
	s_mov_b32 s0, 0xbaee
	v_fma_f16 v3, v3, s0, v8
	ds_write_b16 v36, v9 offset:1428
	ds_write_b16 v36, v29 offset:1496
	;; [unrolled: 1-line block ×3, first 2 shown]
.LBB0_23:
	s_or_b64 exec, exec, s[2:3]
	s_movk_i32 s0, 0xa1
	v_mul_lo_u16_sdwa v31, v14, s0 dst_sel:DWORD dst_unused:UNUSED_PAD src0_sel:BYTE_0 src1_sel:DWORD
	s_mov_b32 s1, 0xa0a1
	v_lshrrev_b16_e32 v31, 14, v31
	v_mul_u32_u24_sdwa v35, v13, s1 dst_sel:DWORD dst_unused:UNUSED_PAD src0_sel:WORD_0 src1_sel:DWORD
	v_mul_lo_u16_e32 v31, 0x66, v31
	v_mov_b32_e32 v3, 0
	v_mul_u32_u24_sdwa v36, v4, s1 dst_sel:DWORD dst_unused:UNUSED_PAD src0_sel:WORD_0 src1_sel:DWORD
	v_lshrrev_b32_e32 v35, 22, v35
	v_sub_u16_e32 v31, v14, v31
	v_lshl_add_u64 v[8:9], v[2:3], 2, s[4:5]
	v_mul_u32_u24_sdwa v37, v6, s1 dst_sel:DWORD dst_unused:UNUSED_PAD src0_sel:WORD_0 src1_sel:DWORD
	v_lshrrev_b32_e32 v36, 22, v36
	v_mul_lo_u16_e32 v35, 0x66, v35
	v_and_b32_e32 v31, 0xff, v31
	s_waitcnt lgkmcnt(0)
	; wave barrier
	s_waitcnt lgkmcnt(0)
	global_load_dword v29, v[8:9], off offset:340
	global_load_dword v30, v[8:9], off offset:544
	v_lshrrev_b32_e32 v37, 22, v37
	v_mul_lo_u16_e32 v36, 0x66, v36
	v_sub_u16_e32 v35, v13, v35
	v_lshlrev_b32_e32 v38, 2, v31
	v_mul_lo_u16_e32 v37, 0x66, v37
	v_sub_u16_e32 v36, v4, v36
	global_load_dword v38, v38, s[4:5] offset:340
	v_lshlrev_b32_e32 v39, 2, v35
	global_load_dword v39, v39, s[4:5] offset:340
	v_sub_u16_e32 v37, v6, v37
	v_lshlrev_b32_e32 v40, 2, v36
	global_load_dword v40, v40, s[4:5] offset:340
	v_lshlrev_b32_e32 v41, 2, v37
	global_load_dword v41, v41, s[4:5] offset:340
	ds_read_u16 v42, v10 offset:918
	ds_read_u16 v43, v10
	ds_read_u16 v44, v10 offset:102
	ds_read_u16 v45, v10 offset:204
	;; [unrolled: 1-line block ×11, first 2 shown]
	ds_read_u16 v55, v12
	ds_read_u16 v56, v11
	ds_read_u16 v57, v10 offset:1530
	s_waitcnt lgkmcnt(0)
	; wave barrier
	s_waitcnt vmcnt(5) lgkmcnt(0)
	v_mul_f16_sdwa v58, v48, v29 dst_sel:DWORD dst_unused:UNUSED_PAD src0_sel:DWORD src1_sel:WORD_1
	v_mul_f16_sdwa v59, v34, v29 dst_sel:DWORD dst_unused:UNUSED_PAD src0_sel:DWORD src1_sel:WORD_1
	;; [unrolled: 1-line block ×4, first 2 shown]
	s_waitcnt vmcnt(4)
	v_mul_f16_sdwa v64, v51, v30 dst_sel:DWORD dst_unused:UNUSED_PAD src0_sel:DWORD src1_sel:WORD_1
	v_mul_f16_sdwa v60, v42, v30 dst_sel:DWORD dst_unused:UNUSED_PAD src0_sel:DWORD src1_sel:WORD_1
	;; [unrolled: 1-line block ×4, first 2 shown]
	v_fma_f16 v34, v34, v29, v58
	v_fma_f16 v48, v48, v29, -v59
	v_fma_f16 v33, v33, v29, v62
	v_fma_f16 v29, v50, v29, -v63
	v_fma_f16 v32, v32, v30, v64
	s_waitcnt vmcnt(3)
	v_mul_f16_sdwa v50, v52, v38 dst_sel:DWORD dst_unused:UNUSED_PAD src0_sel:DWORD src1_sel:WORD_1
	v_fma_f16 v28, v28, v30, v60
	v_fma_f16 v42, v42, v30, -v61
	v_fma_f16 v30, v51, v30, -v65
	v_sub_f16_e32 v34, v25, v34
	v_mul_f16_sdwa v51, v26, v38 dst_sel:DWORD dst_unused:UNUSED_PAD src0_sel:DWORD src1_sel:WORD_1
	s_waitcnt vmcnt(2)
	v_mul_f16_sdwa v58, v53, v39 dst_sel:DWORD dst_unused:UNUSED_PAD src0_sel:DWORD src1_sel:WORD_1
	v_fma_f16 v26, v26, v38, v50
	v_sub_f16_e32 v32, v19, v32
	v_sub_f16_e32 v28, v22, v28
	v_fma_f16 v25, v25, 2.0, -v34
	v_mul_f16_sdwa v59, v23, v39 dst_sel:DWORD dst_unused:UNUSED_PAD src0_sel:DWORD src1_sel:WORD_1
	s_waitcnt vmcnt(1)
	v_mul_f16_sdwa v60, v54, v40 dst_sel:DWORD dst_unused:UNUSED_PAD src0_sel:DWORD src1_sel:WORD_1
	v_fma_f16 v23, v23, v39, v58
	v_sub_f16_e32 v33, v21, v33
	v_fma_f16 v19, v19, 2.0, -v32
	v_sub_f16_e32 v26, v18, v26
	v_fma_f16 v22, v22, 2.0, -v28
	v_mul_f16_sdwa v61, v24, v40 dst_sel:DWORD dst_unused:UNUSED_PAD src0_sel:DWORD src1_sel:WORD_1
	s_waitcnt vmcnt(0)
	v_mul_f16_sdwa v62, v57, v41 dst_sel:DWORD dst_unused:UNUSED_PAD src0_sel:DWORD src1_sel:WORD_1
	v_fma_f16 v24, v24, v40, v60
	v_fma_f16 v21, v21, 2.0, -v33
	v_fma_f16 v18, v18, 2.0, -v26
	v_sub_f16_e32 v23, v7, v23
	ds_write_b16 v10, v25
	ds_write_b16 v10, v34 offset:204
	ds_write_b16 v10, v22 offset:102
	;; [unrolled: 1-line block ×7, first 2 shown]
	v_lshl_add_u32 v19, v31, 1, 0
	v_mul_f16_sdwa v63, v27, v41 dst_sel:DWORD dst_unused:UNUSED_PAD src0_sel:DWORD src1_sel:WORD_1
	v_fma_f16 v27, v27, v41, v62
	v_fma_f16 v7, v7, 2.0, -v23
	v_sub_f16_e32 v24, v20, v24
	ds_write_b16 v19, v18 offset:816
	ds_write_b16 v19, v26 offset:1020
	v_lshl_add_u32 v18, v35, 1, 0
	v_sub_f16_e32 v48, v43, v48
	v_fma_f16 v38, v52, v38, -v51
	v_fma_f16 v39, v53, v39, -v59
	;; [unrolled: 1-line block ×4, first 2 shown]
	v_fma_f16 v20, v20, 2.0, -v24
	v_sub_f16_e32 v27, v5, v27
	ds_write_b16 v18, v7 offset:816
	ds_write_b16 v18, v23 offset:1020
	v_lshl_add_u32 v7, v36, 1, 0
	v_sub_f16_e32 v42, v44, v42
	v_fma_f16 v43, v43, 2.0, -v48
	v_sub_f16_e32 v29, v45, v29
	v_sub_f16_e32 v30, v46, v30
	;; [unrolled: 1-line block ×6, first 2 shown]
	v_fma_f16 v5, v5, 2.0, -v27
	ds_write_b16 v7, v20 offset:1224
	ds_write_b16 v7, v24 offset:1428
	v_lshl_add_u32 v20, v37, 1, 0
	v_fma_f16 v44, v44, 2.0, -v42
	v_fma_f16 v45, v45, 2.0, -v29
	;; [unrolled: 1-line block ×7, first 2 shown]
	ds_write_b16 v20, v5 offset:1224
	ds_write_b16 v20, v27 offset:1428
	s_waitcnt lgkmcnt(0)
	; wave barrier
	s_waitcnt lgkmcnt(0)
	ds_read_u16 v5, v10 offset:918
	ds_read_u16 v21, v10
	ds_read_u16 v22, v10 offset:102
	ds_read_u16 v23, v10 offset:204
	;; [unrolled: 1-line block ×11, first 2 shown]
	ds_read_u16 v35, v12
	ds_read_u16 v36, v11
	ds_read_u16 v37, v10 offset:1530
	s_waitcnt lgkmcnt(0)
	; wave barrier
	s_waitcnt lgkmcnt(0)
	ds_write_b16 v10, v43
	ds_write_b16 v10, v48 offset:204
	ds_write_b16 v10, v44 offset:102
	ds_write_b16 v10, v42 offset:306
	ds_write_b16 v10, v45 offset:408
	ds_write_b16 v10, v29 offset:612
	ds_write_b16 v10, v46 offset:510
	ds_write_b16 v10, v30 offset:714
	ds_write_b16 v19, v47 offset:816
	ds_write_b16 v19, v38 offset:1020
	ds_write_b16 v18, v49 offset:816
	ds_write_b16 v18, v39 offset:1020
	ds_write_b16 v7, v50 offset:1224
	ds_write_b16 v7, v40 offset:1428
	ds_write_b16 v20, v51 offset:1224
	ds_write_b16 v20, v41 offset:1428
	s_waitcnt lgkmcnt(0)
	; wave barrier
	s_waitcnt lgkmcnt(0)
	global_load_dword v7, v[8:9], off offset:748
	global_load_dword v18, v[8:9], off offset:952
	;; [unrolled: 1-line block ×4, first 2 shown]
	ds_read_u16 v29, v10 offset:918
	ds_read_u16 v30, v10
	ds_read_u16 v38, v10 offset:102
	ds_read_u16 v39, v10 offset:204
	;; [unrolled: 1-line block ×11, first 2 shown]
	ds_read_u16 v49, v12
	ds_read_u16 v50, v11
	ds_read_u16 v51, v10 offset:1530
	s_waitcnt lgkmcnt(0)
	; wave barrier
	s_waitcnt vmcnt(3) lgkmcnt(0)
	v_mul_f16_sdwa v52, v42, v7 dst_sel:DWORD dst_unused:UNUSED_PAD src0_sel:DWORD src1_sel:WORD_1
	v_fma_f16 v52, v26, v7, v52
	v_mul_f16_sdwa v26, v26, v7 dst_sel:DWORD dst_unused:UNUSED_PAD src0_sel:DWORD src1_sel:WORD_1
	v_fma_f16 v26, v42, v7, -v26
	s_waitcnt vmcnt(2)
	v_mul_f16_sdwa v42, v29, v18 dst_sel:DWORD dst_unused:UNUSED_PAD src0_sel:DWORD src1_sel:WORD_1
	v_fma_f16 v42, v5, v18, v42
	v_mul_f16_sdwa v5, v5, v18 dst_sel:DWORD dst_unused:UNUSED_PAD src0_sel:DWORD src1_sel:WORD_1
	v_fma_f16 v5, v29, v18, -v5
	s_waitcnt vmcnt(1)
	;; [unrolled: 5-line block ×3, first 2 shown]
	v_mul_f16_sdwa v44, v45, v20 dst_sel:DWORD dst_unused:UNUSED_PAD src0_sel:DWORD src1_sel:WORD_1
	v_fma_f16 v44, v31, v20, v44
	v_mul_f16_sdwa v31, v31, v20 dst_sel:DWORD dst_unused:UNUSED_PAD src0_sel:DWORD src1_sel:WORD_1
	v_fma_f16 v31, v45, v20, -v31
	v_mul_f16_sdwa v45, v46, v7 dst_sel:DWORD dst_unused:UNUSED_PAD src0_sel:DWORD src1_sel:WORD_1
	v_fma_f16 v45, v32, v7, v45
	v_mul_f16_sdwa v32, v32, v7 dst_sel:DWORD dst_unused:UNUSED_PAD src0_sel:DWORD src1_sel:WORD_1
	v_fma_f16 v7, v46, v7, -v32
	;; [unrolled: 4-line block ×4, first 2 shown]
	v_mul_f16_sdwa v34, v51, v20 dst_sel:DWORD dst_unused:UNUSED_PAD src0_sel:DWORD src1_sel:WORD_1
	v_fma_f16 v34, v37, v20, v34
	v_mul_f16_sdwa v37, v37, v20 dst_sel:DWORD dst_unused:UNUSED_PAD src0_sel:DWORD src1_sel:WORD_1
	v_sub_f16_e32 v46, v30, v26
	v_sub_f16_e32 v26, v22, v42
	v_sub_f16_e32 v42, v39, v28
	v_sub_f16_e32 v28, v24, v44
	v_sub_f16_e32 v44, v40, v31
	v_sub_f16_e32 v31, v27, v32
	v_fma_f16 v20, v51, v20, -v37
	v_sub_f16_e32 v37, v21, v52
	v_fma_f16 v47, v30, 2.0, -v46
	v_sub_f16_e32 v29, v23, v29
	v_sub_f16_e32 v30, v25, v45
	;; [unrolled: 1-line block ×3, first 2 shown]
	v_fma_f16 v18, v27, 2.0, -v31
	v_sub_f16_e32 v27, v36, v33
	v_sub_f16_e32 v32, v35, v34
	v_fma_f16 v21, v21, 2.0, -v37
	v_fma_f16 v22, v22, 2.0, -v26
	;; [unrolled: 1-line block ×5, first 2 shown]
	v_sub_f16_e32 v48, v50, v19
	v_fma_f16 v19, v36, 2.0, -v27
	v_sub_f16_e32 v34, v49, v20
	v_fma_f16 v20, v35, 2.0, -v32
	ds_write_b16 v10, v21
	ds_write_b16 v10, v37 offset:408
	ds_write_b16 v10, v22 offset:102
	;; [unrolled: 1-line block ×15, first 2 shown]
	s_waitcnt lgkmcnt(0)
	; wave barrier
	s_waitcnt lgkmcnt(0)
	ds_read_u16 v26, v10 offset:918
	ds_read_u16 v18, v10
	ds_read_u16 v19, v10 offset:102
	ds_read_u16 v21, v10 offset:204
	;; [unrolled: 1-line block ×11, first 2 shown]
	ds_read_u16 v27, v12
	ds_read_u16 v25, v11
	ds_read_u16 v33, v10 offset:1530
	v_sub_f16_e32 v5, v38, v5
	v_sub_f16_e32 v7, v41, v7
	v_fma_f16 v38, v38, 2.0, -v5
	v_fma_f16 v39, v39, 2.0, -v42
	;; [unrolled: 1-line block ×7, first 2 shown]
	s_waitcnt lgkmcnt(0)
	; wave barrier
	s_waitcnt lgkmcnt(0)
	ds_write_b16 v10, v47
	ds_write_b16 v10, v46 offset:408
	ds_write_b16 v10, v38 offset:102
	;; [unrolled: 1-line block ×15, first 2 shown]
	s_waitcnt lgkmcnt(0)
	; wave barrier
	s_waitcnt lgkmcnt(0)
	s_and_saveexec_b64 s[0:1], vcc
	s_cbranch_execz .LBB0_25
; %bb.24:
	v_mov_b32_e32 v7, v3
	v_lshl_add_u64 v[6:7], v[6:7], 2, s[4:5]
	v_mov_b32_e32 v5, v3
	global_load_dword v3, v[6:7], off offset:1564
	v_lshl_add_u64 v[4:5], v[4:5], 2, s[4:5]
	global_load_dword v6, v[4:5], off offset:1564
	global_load_dword v7, v[8:9], off offset:2584
	;; [unrolled: 1-line block ×7, first 2 shown]
	ds_read_u16 v4, v12
	ds_read_u16 v5, v11
	ds_read_u16 v8, v10 offset:1530
	ds_read_u16 v9, v10 offset:1428
	ds_read_u16 v11, v10 offset:1326
	ds_read_u16 v12, v10 offset:1224
	ds_read_u16 v39, v10 offset:1122
	ds_read_u16 v40, v10 offset:1020
	ds_read_u16 v41, v10 offset:918
	ds_read_u16 v42, v10 offset:816
	ds_read_u16 v43, v10 offset:510
	ds_read_u16 v44, v10 offset:408
	ds_read_u16 v45, v10 offset:306
	ds_read_u16 v46, v10 offset:204
	ds_read_u16 v47, v10 offset:102
	ds_read_u16 v10, v10
	s_mov_b32 s3, 0xa0a0a0a1
	s_movk_i32 s2, 0x198
	s_waitcnt vmcnt(6) lgkmcnt(12)
	v_mul_f16_sdwa v50, v6, v9 dst_sel:DWORD dst_unused:UNUSED_PAD src0_sel:WORD_1 src1_sel:DWORD
	v_mul_f16_sdwa v51, v32, v6 dst_sel:DWORD dst_unused:UNUSED_PAD src0_sel:DWORD src1_sel:WORD_1
	s_waitcnt vmcnt(5) lgkmcnt(11)
	v_mul_f16_sdwa v52, v7, v11 dst_sel:DWORD dst_unused:UNUSED_PAD src0_sel:WORD_1 src1_sel:DWORD
	v_mul_f16_sdwa v53, v31, v7 dst_sel:DWORD dst_unused:UNUSED_PAD src0_sel:DWORD src1_sel:WORD_1
	v_mul_f16_sdwa v48, v3, v8 dst_sel:DWORD dst_unused:UNUSED_PAD src0_sel:WORD_1 src1_sel:DWORD
	v_mul_f16_sdwa v49, v33, v3 dst_sel:DWORD dst_unused:UNUSED_PAD src0_sel:DWORD src1_sel:WORD_1
	s_waitcnt vmcnt(4) lgkmcnt(10)
	v_mul_f16_sdwa v54, v34, v12 dst_sel:DWORD dst_unused:UNUSED_PAD src0_sel:WORD_1 src1_sel:DWORD
	s_waitcnt vmcnt(3) lgkmcnt(9)
	v_mul_f16_sdwa v56, v35, v39 dst_sel:DWORD dst_unused:UNUSED_PAD src0_sel:WORD_1 src1_sel:DWORD
	v_mul_f16_sdwa v57, v29, v35 dst_sel:DWORD dst_unused:UNUSED_PAD src0_sel:DWORD src1_sel:WORD_1
	v_fma_f16 v33, v33, v3, v48
	v_fma_f16 v3, v3, v8, -v49
	v_mul_f16_sdwa v55, v30, v34 dst_sel:DWORD dst_unused:UNUSED_PAD src0_sel:DWORD src1_sel:WORD_1
	s_waitcnt vmcnt(1) lgkmcnt(7)
	v_mul_f16_sdwa v60, v37, v41 dst_sel:DWORD dst_unused:UNUSED_PAD src0_sel:WORD_1 src1_sel:DWORD
	v_mul_f16_sdwa v61, v26, v37 dst_sel:DWORD dst_unused:UNUSED_PAD src0_sel:DWORD src1_sel:WORD_1
	v_fma_f16 v8, v32, v6, v50
	v_fma_f16 v6, v6, v9, -v51
	v_fma_f16 v9, v31, v7, v52
	v_fma_f16 v7, v7, v11, -v53
	v_fma_f16 v11, v30, v34, v54
	v_fma_f16 v29, v29, v35, v56
	v_fma_f16 v30, v35, v39, -v57
	v_sub_f16_e32 v35, v4, v3
	v_fma_f16 v26, v26, v37, v60
	v_fma_f16 v32, v37, v41, -v61
	v_fma_f16 v37, v4, 2.0, -v35
	s_waitcnt vmcnt(0)
	v_mul_f16_sdwa v4, v20, v38 dst_sel:DWORD dst_unused:UNUSED_PAD src0_sel:DWORD src1_sel:WORD_1
	s_waitcnt lgkmcnt(6)
	v_mul_f16_sdwa v62, v38, v42 dst_sel:DWORD dst_unused:UNUSED_PAD src0_sel:WORD_1 src1_sel:DWORD
	v_sub_f16_e32 v3, v25, v8
	v_sub_f16_e32 v8, v5, v6
	v_fma_f16 v4, v38, v42, -v4
	v_fma_f16 v12, v34, v12, -v55
	v_fma_f16 v34, v20, v38, v62
	v_fma_f16 v39, v5, 2.0, -v8
	s_waitcnt lgkmcnt(0)
	v_sub_f16_e32 v20, v10, v4
	v_mad_u64_u32 v[4:5], s[0:1], s8, v2, 0
	v_mul_f16_sdwa v58, v36, v40 dst_sel:DWORD dst_unused:UNUSED_PAD src0_sel:WORD_1 src1_sel:DWORD
	v_mul_f16_sdwa v59, v28, v36 dst_sel:DWORD dst_unused:UNUSED_PAD src0_sel:DWORD src1_sel:WORD_1
	v_mov_b32_e32 v6, v5
	v_fma_f16 v28, v28, v36, v58
	v_fma_f16 v31, v36, v40, -v59
	v_sub_f16_e32 v36, v43, v7
	v_sub_f16_e32 v34, v18, v34
	v_mad_u64_u32 v[6:7], s[0:1], s9, v2, v[6:7]
	v_fma_f16 v18, v18, 2.0, -v34
	v_fma_f16 v10, v10, 2.0, -v20
	v_mov_b32_e32 v5, v6
	v_lshl_add_u64 v[4:5], v[4:5], 2, v[0:1]
	v_pack_b32_f16 v6, v18, v10
	v_add_u32_e32 v7, 0x198, v2
	global_store_dword v[4:5], v6, off
	v_mad_u64_u32 v[4:5], s[0:1], s8, v7, 0
	v_mov_b32_e32 v6, v5
	v_mad_u64_u32 v[6:7], s[0:1], s9, v7, v[6:7]
	v_mov_b32_e32 v5, v6
	v_lshl_add_u64 v[4:5], v[4:5], 2, v[0:1]
	v_pack_b32_f16 v6, v34, v20
	global_store_dword v[4:5], v6, off
	v_mad_u64_u32 v[4:5], s[0:1], s8, v17, 0
	v_mov_b32_e32 v6, v5
	v_sub_f16_e32 v30, v45, v30
	v_sub_f16_e32 v26, v19, v26
	;; [unrolled: 1-line block ×3, first 2 shown]
	v_mad_u64_u32 v[6:7], s[0:1], s9, v17, v[6:7]
	v_fma_f16 v40, v43, 2.0, -v36
	v_fma_f16 v43, v45, 2.0, -v30
	;; [unrolled: 1-line block ×4, first 2 shown]
	v_mov_b32_e32 v5, v6
	v_lshl_add_u64 v[4:5], v[4:5], 2, v[0:1]
	v_pack_b32_f16 v6, v19, v45
	v_add_u32_e32 v7, 0x1cb, v2
	global_store_dword v[4:5], v6, off
	v_mad_u64_u32 v[4:5], s[0:1], s8, v7, 0
	v_mov_b32_e32 v6, v5
	v_mad_u64_u32 v[6:7], s[0:1], s9, v7, v[6:7]
	v_mov_b32_e32 v5, v6
	v_lshl_add_u64 v[4:5], v[4:5], 2, v[0:1]
	v_pack_b32_f16 v6, v26, v32
	global_store_dword v[4:5], v6, off
	v_mad_u64_u32 v[4:5], s[0:1], s8, v16, 0
	v_mov_b32_e32 v6, v5
	v_sub_f16_e32 v12, v44, v12
	v_sub_f16_e32 v28, v21, v28
	;; [unrolled: 1-line block ×3, first 2 shown]
	v_mad_u64_u32 v[6:7], s[0:1], s9, v16, v[6:7]
	v_fma_f16 v41, v44, 2.0, -v12
	v_fma_f16 v21, v21, 2.0, -v28
	;; [unrolled: 1-line block ×3, first 2 shown]
	v_mov_b32_e32 v5, v6
	v_lshl_add_u64 v[4:5], v[4:5], 2, v[0:1]
	v_pack_b32_f16 v6, v21, v44
	v_add_u32_e32 v7, 0x1fe, v2
	global_store_dword v[4:5], v6, off
	v_mad_u64_u32 v[4:5], s[0:1], s8, v7, 0
	v_mov_b32_e32 v6, v5
	v_mad_u64_u32 v[6:7], s[0:1], s9, v7, v[6:7]
	v_mov_b32_e32 v5, v6
	v_lshl_add_u64 v[4:5], v[4:5], 2, v[0:1]
	v_pack_b32_f16 v6, v28, v31
	global_store_dword v[4:5], v6, off
	v_mad_u64_u32 v[4:5], s[0:1], s8, v15, 0
	v_mov_b32_e32 v6, v5
	v_sub_f16_e32 v29, v22, v29
	v_mad_u64_u32 v[6:7], s[0:1], s9, v15, v[6:7]
	v_fma_f16 v22, v22, 2.0, -v29
	v_mov_b32_e32 v5, v6
	v_lshl_add_u64 v[4:5], v[4:5], 2, v[0:1]
	v_pack_b32_f16 v6, v22, v43
	v_add_u32_e32 v7, 0x231, v2
	global_store_dword v[4:5], v6, off
	v_mad_u64_u32 v[4:5], s[0:1], s8, v7, 0
	v_mov_b32_e32 v6, v5
	v_mad_u64_u32 v[6:7], s[0:1], s9, v7, v[6:7]
	v_mov_b32_e32 v5, v6
	v_lshl_add_u64 v[4:5], v[4:5], 2, v[0:1]
	v_pack_b32_f16 v6, v29, v30
	global_store_dword v[4:5], v6, off
	v_mul_hi_u32 v4, v14, s3
	v_lshrrev_b32_e32 v4, 8, v4
	v_mad_u32_u24 v10, v4, s2, v14
	v_mad_u64_u32 v[4:5], s[0:1], s8, v10, 0
	v_mov_b32_e32 v6, v5
	v_sub_f16_e32 v11, v23, v11
	v_mad_u64_u32 v[6:7], s[0:1], s9, v10, v[6:7]
	v_fma_f16 v23, v23, 2.0, -v11
	v_mov_b32_e32 v5, v6
	v_lshl_add_u64 v[4:5], v[4:5], 2, v[0:1]
	v_pack_b32_f16 v6, v23, v41
	v_add_u32_e32 v7, 0x198, v10
	global_store_dword v[4:5], v6, off
	v_mad_u64_u32 v[4:5], s[0:1], s8, v7, 0
	v_mov_b32_e32 v6, v5
	v_mad_u64_u32 v[6:7], s[0:1], s9, v7, v[6:7]
	v_mov_b32_e32 v5, v6
	v_lshl_add_u64 v[4:5], v[4:5], 2, v[0:1]
	v_pack_b32_f16 v6, v11, v12
	global_store_dword v[4:5], v6, off
	v_mul_hi_u32 v4, v13, s3
	v_lshrrev_b32_e32 v4, 8, v4
	v_mad_u32_u24 v10, v4, s2, v13
	v_mad_u64_u32 v[4:5], s[0:1], s8, v10, 0
	v_mov_b32_e32 v6, v5
	v_sub_f16_e32 v9, v24, v9
	v_mad_u64_u32 v[6:7], s[0:1], s9, v10, v[6:7]
	v_fma_f16 v24, v24, 2.0, -v9
	v_mov_b32_e32 v5, v6
	v_lshl_add_u64 v[4:5], v[4:5], 2, v[0:1]
	v_pack_b32_f16 v6, v24, v40
	v_add_u32_e32 v7, 0x198, v10
	global_store_dword v[4:5], v6, off
	v_mad_u64_u32 v[4:5], s[0:1], s8, v7, 0
	v_mov_b32_e32 v6, v5
	v_mad_u64_u32 v[6:7], s[0:1], s9, v7, v[6:7]
	v_mov_b32_e32 v5, v6
	v_lshl_add_u64 v[4:5], v[4:5], 2, v[0:1]
	v_pack_b32_f16 v6, v9, v36
	v_add_u32_e32 v7, 0x132, v2
	global_store_dword v[4:5], v6, off
	v_mad_u64_u32 v[4:5], s[0:1], s8, v7, 0
	v_mov_b32_e32 v6, v5
	v_mad_u64_u32 v[6:7], s[0:1], s9, v7, v[6:7]
	v_fma_f16 v25, v25, 2.0, -v3
	v_mov_b32_e32 v5, v6
	v_lshl_add_u64 v[4:5], v[4:5], 2, v[0:1]
	v_pack_b32_f16 v6, v25, v39
	v_add_u32_e32 v7, 0x2ca, v2
	global_store_dword v[4:5], v6, off
	v_mad_u64_u32 v[4:5], s[0:1], s8, v7, 0
	v_mov_b32_e32 v6, v5
	v_mad_u64_u32 v[6:7], s[0:1], s9, v7, v[6:7]
	v_mov_b32_e32 v5, v6
	v_lshl_add_u64 v[4:5], v[4:5], 2, v[0:1]
	v_pack_b32_f16 v3, v3, v8
	v_add_u32_e32 v2, 0x165, v2
	global_store_dword v[4:5], v3, off
	v_mul_hi_u32 v3, v2, s3
	v_lshrrev_b32_e32 v3, 8, v3
	v_mad_u32_u24 v6, v3, s2, v2
	v_mad_u64_u32 v[2:3], s[0:1], s8, v6, 0
	v_mov_b32_e32 v4, v3
	v_sub_f16_e32 v33, v27, v33
	v_mad_u64_u32 v[4:5], s[0:1], s9, v6, v[4:5]
	v_fma_f16 v27, v27, 2.0, -v33
	v_mov_b32_e32 v3, v4
	v_lshl_add_u64 v[2:3], v[2:3], 2, v[0:1]
	v_pack_b32_f16 v4, v27, v37
	v_add_u32_e32 v5, 0x198, v6
	global_store_dword v[2:3], v4, off
	v_mad_u64_u32 v[2:3], s[0:1], s8, v5, 0
	v_mov_b32_e32 v4, v3
	v_mad_u64_u32 v[4:5], s[0:1], s9, v5, v[4:5]
	v_mov_b32_e32 v3, v4
	v_lshl_add_u64 v[0:1], v[2:3], 2, v[0:1]
	v_pack_b32_f16 v2, v33, v35
	global_store_dword v[0:1], v2, off
.LBB0_25:
	s_endpgm
	.section	.rodata,"a",@progbits
	.p2align	6, 0x0
	.amdhsa_kernel fft_rtc_back_len816_factors_17_2_3_2_2_2_wgs_51_tpt_51_halfLds_half_ip_CI_sbrr_dirReg
		.amdhsa_group_segment_fixed_size 0
		.amdhsa_private_segment_fixed_size 0
		.amdhsa_kernarg_size 88
		.amdhsa_user_sgpr_count 2
		.amdhsa_user_sgpr_dispatch_ptr 0
		.amdhsa_user_sgpr_queue_ptr 0
		.amdhsa_user_sgpr_kernarg_segment_ptr 1
		.amdhsa_user_sgpr_dispatch_id 0
		.amdhsa_user_sgpr_kernarg_preload_length 0
		.amdhsa_user_sgpr_kernarg_preload_offset 0
		.amdhsa_user_sgpr_private_segment_size 0
		.amdhsa_uses_dynamic_stack 0
		.amdhsa_enable_private_segment 0
		.amdhsa_system_sgpr_workgroup_id_x 1
		.amdhsa_system_sgpr_workgroup_id_y 0
		.amdhsa_system_sgpr_workgroup_id_z 0
		.amdhsa_system_sgpr_workgroup_info 0
		.amdhsa_system_vgpr_workitem_id 0
		.amdhsa_next_free_vgpr 98
		.amdhsa_next_free_sgpr 38
		.amdhsa_accum_offset 100
		.amdhsa_reserve_vcc 1
		.amdhsa_float_round_mode_32 0
		.amdhsa_float_round_mode_16_64 0
		.amdhsa_float_denorm_mode_32 3
		.amdhsa_float_denorm_mode_16_64 3
		.amdhsa_dx10_clamp 1
		.amdhsa_ieee_mode 1
		.amdhsa_fp16_overflow 0
		.amdhsa_tg_split 0
		.amdhsa_exception_fp_ieee_invalid_op 0
		.amdhsa_exception_fp_denorm_src 0
		.amdhsa_exception_fp_ieee_div_zero 0
		.amdhsa_exception_fp_ieee_overflow 0
		.amdhsa_exception_fp_ieee_underflow 0
		.amdhsa_exception_fp_ieee_inexact 0
		.amdhsa_exception_int_div_zero 0
	.end_amdhsa_kernel
	.text
.Lfunc_end0:
	.size	fft_rtc_back_len816_factors_17_2_3_2_2_2_wgs_51_tpt_51_halfLds_half_ip_CI_sbrr_dirReg, .Lfunc_end0-fft_rtc_back_len816_factors_17_2_3_2_2_2_wgs_51_tpt_51_halfLds_half_ip_CI_sbrr_dirReg
                                        ; -- End function
	.section	.AMDGPU.csdata,"",@progbits
; Kernel info:
; codeLenInByte = 15128
; NumSgprs: 44
; NumVgprs: 98
; NumAgprs: 0
; TotalNumVgprs: 98
; ScratchSize: 0
; MemoryBound: 0
; FloatMode: 240
; IeeeMode: 1
; LDSByteSize: 0 bytes/workgroup (compile time only)
; SGPRBlocks: 5
; VGPRBlocks: 12
; NumSGPRsForWavesPerEU: 44
; NumVGPRsForWavesPerEU: 98
; AccumOffset: 100
; Occupancy: 4
; WaveLimiterHint : 1
; COMPUTE_PGM_RSRC2:SCRATCH_EN: 0
; COMPUTE_PGM_RSRC2:USER_SGPR: 2
; COMPUTE_PGM_RSRC2:TRAP_HANDLER: 0
; COMPUTE_PGM_RSRC2:TGID_X_EN: 1
; COMPUTE_PGM_RSRC2:TGID_Y_EN: 0
; COMPUTE_PGM_RSRC2:TGID_Z_EN: 0
; COMPUTE_PGM_RSRC2:TIDIG_COMP_CNT: 0
; COMPUTE_PGM_RSRC3_GFX90A:ACCUM_OFFSET: 24
; COMPUTE_PGM_RSRC3_GFX90A:TG_SPLIT: 0
	.text
	.p2alignl 6, 3212836864
	.fill 256, 4, 3212836864
	.type	__hip_cuid_da7d71e7878177cd,@object ; @__hip_cuid_da7d71e7878177cd
	.section	.bss,"aw",@nobits
	.globl	__hip_cuid_da7d71e7878177cd
__hip_cuid_da7d71e7878177cd:
	.byte	0                               ; 0x0
	.size	__hip_cuid_da7d71e7878177cd, 1

	.ident	"AMD clang version 19.0.0git (https://github.com/RadeonOpenCompute/llvm-project roc-6.4.0 25133 c7fe45cf4b819c5991fe208aaa96edf142730f1d)"
	.section	".note.GNU-stack","",@progbits
	.addrsig
	.addrsig_sym __hip_cuid_da7d71e7878177cd
	.amdgpu_metadata
---
amdhsa.kernels:
  - .agpr_count:     0
    .args:
      - .actual_access:  read_only
        .address_space:  global
        .offset:         0
        .size:           8
        .value_kind:     global_buffer
      - .offset:         8
        .size:           8
        .value_kind:     by_value
      - .actual_access:  read_only
        .address_space:  global
        .offset:         16
        .size:           8
        .value_kind:     global_buffer
      - .actual_access:  read_only
        .address_space:  global
        .offset:         24
        .size:           8
        .value_kind:     global_buffer
      - .offset:         32
        .size:           8
        .value_kind:     by_value
      - .actual_access:  read_only
        .address_space:  global
        .offset:         40
        .size:           8
        .value_kind:     global_buffer
      - .actual_access:  read_only
        .address_space:  global
        .offset:         48
        .size:           8
        .value_kind:     global_buffer
      - .offset:         56
        .size:           4
        .value_kind:     by_value
      - .actual_access:  read_only
        .address_space:  global
        .offset:         64
        .size:           8
        .value_kind:     global_buffer
      - .actual_access:  read_only
        .address_space:  global
        .offset:         72
        .size:           8
        .value_kind:     global_buffer
      - .address_space:  global
        .offset:         80
        .size:           8
        .value_kind:     global_buffer
    .group_segment_fixed_size: 0
    .kernarg_segment_align: 8
    .kernarg_segment_size: 88
    .language:       OpenCL C
    .language_version:
      - 2
      - 0
    .max_flat_workgroup_size: 51
    .name:           fft_rtc_back_len816_factors_17_2_3_2_2_2_wgs_51_tpt_51_halfLds_half_ip_CI_sbrr_dirReg
    .private_segment_fixed_size: 0
    .sgpr_count:     44
    .sgpr_spill_count: 0
    .symbol:         fft_rtc_back_len816_factors_17_2_3_2_2_2_wgs_51_tpt_51_halfLds_half_ip_CI_sbrr_dirReg.kd
    .uniform_work_group_size: 1
    .uses_dynamic_stack: false
    .vgpr_count:     98
    .vgpr_spill_count: 0
    .wavefront_size: 64
amdhsa.target:   amdgcn-amd-amdhsa--gfx950
amdhsa.version:
  - 1
  - 2
...

	.end_amdgpu_metadata
